;; amdgpu-corpus repo=ROCm/rocFFT kind=compiled arch=gfx1201 opt=O3
	.text
	.amdgcn_target "amdgcn-amd-amdhsa--gfx1201"
	.amdhsa_code_object_version 6
	.protected	bluestein_single_back_len1210_dim1_half_op_CI_CI ; -- Begin function bluestein_single_back_len1210_dim1_half_op_CI_CI
	.globl	bluestein_single_back_len1210_dim1_half_op_CI_CI
	.p2align	8
	.type	bluestein_single_back_len1210_dim1_half_op_CI_CI,@function
bluestein_single_back_len1210_dim1_half_op_CI_CI: ; @bluestein_single_back_len1210_dim1_half_op_CI_CI
; %bb.0:
	s_load_b128 s[8:11], s[0:1], 0x28
	v_mul_u32_u24_e32 v1, 0x254, v0
	s_mov_b32 s2, exec_lo
	v_mov_b32_e32 v23, 0
	s_delay_alu instid0(VALU_DEP_2) | instskip(NEXT) | instid1(VALU_DEP_1)
	v_lshrrev_b32_e32 v1, 16, v1
	v_add_nc_u32_e32 v22, ttmp9, v1
	s_wait_kmcnt 0x0
	s_delay_alu instid0(VALU_DEP_1)
	v_cmpx_gt_u64_e64 s[8:9], v[22:23]
	s_cbranch_execz .LBB0_23
; %bb.1:
	s_clause 0x1
	s_load_b128 s[4:7], s[0:1], 0x18
	s_load_b64 s[16:17], s[0:1], 0x0
	v_mul_lo_u16 v1, 0x6e, v1
	s_movk_i32 s2, 0xfe11
	s_mov_b32 s3, -1
	s_delay_alu instid0(VALU_DEP_1) | instskip(NEXT) | instid1(VALU_DEP_1)
	v_sub_nc_u16 v7, v0, v1
	v_and_b32_e32 v55, 0xffff, v7
	s_delay_alu instid0(VALU_DEP_1)
	v_lshlrev_b32_e32 v41, 2, v55
	s_wait_kmcnt 0x0
	s_load_b128 s[12:15], s[4:5], 0x0
	s_clause 0x9
	global_load_b32 v58, v41, s[16:17] offset:2420
	global_load_b32 v53, v41, s[16:17] offset:2860
	;; [unrolled: 1-line block ×3, first 2 shown]
	global_load_b32 v61, v41, s[16:17]
	global_load_b32 v57, v41, s[16:17] offset:440
	global_load_b32 v52, v41, s[16:17] offset:880
	;; [unrolled: 1-line block ×6, first 2 shown]
	s_wait_kmcnt 0x0
	v_mad_co_u64_u32 v[0:1], null, s14, v22, 0
	v_mad_co_u64_u32 v[2:3], null, s12, v55, 0
	s_mul_u64 s[4:5], s[12:13], 0x25d
	s_mul_u64 s[2:3], s[12:13], s[2:3]
	v_add_co_u32 v20, s12, s16, v41
	s_lshl_b64 s[2:3], s[2:3], 2
	s_wait_alu 0xf1ff
	v_add_co_ci_u32_e64 v21, null, s17, 0, s12
	s_delay_alu instid0(VALU_DEP_3) | instskip(NEXT) | instid1(VALU_DEP_1)
	v_mad_co_u64_u32 v[4:5], null, s15, v22, v[1:2]
	v_mad_co_u64_u32 v[5:6], null, s13, v55, v[3:4]
	v_mov_b32_e32 v1, v4
	s_delay_alu instid0(VALU_DEP_1) | instskip(NEXT) | instid1(VALU_DEP_3)
	v_lshlrev_b64_e32 v[0:1], 2, v[0:1]
	v_mov_b32_e32 v3, v5
	s_delay_alu instid0(VALU_DEP_2) | instskip(NEXT) | instid1(VALU_DEP_2)
	v_add_co_u32 v0, vcc_lo, s10, v0
	v_lshlrev_b64_e32 v[2:3], 2, v[2:3]
	s_delay_alu instid0(VALU_DEP_4) | instskip(SKIP_1) | instid1(VALU_DEP_2)
	v_add_co_ci_u32_e32 v1, vcc_lo, s11, v1, vcc_lo
	s_lshl_b64 s[10:11], s[4:5], 2
	v_add_co_u32 v0, vcc_lo, v0, v2
	s_wait_alu 0xfffd
	s_delay_alu instid0(VALU_DEP_2) | instskip(SKIP_1) | instid1(VALU_DEP_2)
	v_add_co_ci_u32_e32 v1, vcc_lo, v1, v3, vcc_lo
	s_wait_alu 0xfffe
	v_add_co_u32 v2, vcc_lo, v0, s10
	s_wait_alu 0xfffd
	s_delay_alu instid0(VALU_DEP_2)
	v_add_co_ci_u32_e32 v3, vcc_lo, s11, v1, vcc_lo
	s_clause 0x1
	global_load_b32 v4, v[0:1], off
	global_load_b32 v5, v[2:3], off
	v_add_co_u32 v0, vcc_lo, v2, s2
	s_wait_alu 0xfffd
	v_add_co_ci_u32_e32 v1, vcc_lo, s3, v3, vcc_lo
	s_delay_alu instid0(VALU_DEP_2) | instskip(SKIP_1) | instid1(VALU_DEP_2)
	v_add_co_u32 v2, vcc_lo, v0, s10
	s_wait_alu 0xfffd
	v_add_co_ci_u32_e32 v3, vcc_lo, s11, v1, vcc_lo
	global_load_b32 v6, v[0:1], off
	v_add_co_u32 v0, vcc_lo, v2, s2
	s_wait_alu 0xfffd
	v_add_co_ci_u32_e32 v1, vcc_lo, s3, v3, vcc_lo
	s_clause 0x1
	global_load_b32 v8, v[2:3], off
	global_load_b32 v9, v[0:1], off
	v_add_co_u32 v0, vcc_lo, v0, s10
	s_wait_alu 0xfffd
	v_add_co_ci_u32_e32 v1, vcc_lo, s11, v1, vcc_lo
	s_delay_alu instid0(VALU_DEP_2) | instskip(SKIP_1) | instid1(VALU_DEP_2)
	v_add_co_u32 v2, vcc_lo, v0, s2
	s_wait_alu 0xfffd
	v_add_co_ci_u32_e32 v3, vcc_lo, s3, v1, vcc_lo
	global_load_b32 v10, v[0:1], off
	v_add_co_u32 v0, vcc_lo, v2, s10
	s_wait_alu 0xfffd
	v_add_co_ci_u32_e32 v1, vcc_lo, s11, v3, vcc_lo
	global_load_b32 v11, v[2:3], off
	;; [unrolled: 4-line block ×4, first 2 shown]
	global_load_b32 v14, v[0:1], off
	s_load_b64 s[8:9], s[0:1], 0x38
	s_load_b128 s[4:7], s[6:7], 0x0
	v_add_nc_u32_e32 v3, 0xa00, v41
	v_add_nc_u32_e32 v2, 0x200, v41
	v_cmp_gt_u16_e32 vcc_lo, 55, v7
	s_wait_loadcnt 0x10
	v_lshrrev_b32_e32 v62, 16, v61
	v_lshrrev_b32_e32 v60, 16, v58
	s_wait_loadcnt 0xf
	v_lshrrev_b32_e32 v59, 16, v57
	v_lshrrev_b32_e32 v56, 16, v53
	;; [unrolled: 3-line block ×3, first 2 shown]
	s_wait_loadcnt 0xd
	v_lshrrev_b32_e32 v49, 16, v48
	s_wait_loadcnt 0xc
	v_lshrrev_b32_e32 v47, 16, v46
	;; [unrolled: 2-line block ×5, first 2 shown]
	v_mul_f16_e32 v16, v62, v4
	s_wait_loadcnt 0x8
	v_lshrrev_b32_e32 v18, 16, v5
	v_mul_f16_e32 v19, v60, v5
	v_mul_f16_e32 v17, v62, v15
	v_fma_f16 v15, v61, v15, -v16
	s_delay_alu instid0(VALU_DEP_2)
	v_fmac_f16_e32 v17, v61, v4
	v_mul_f16_e32 v4, v60, v18
	v_fma_f16 v18, v58, v18, -v19
	s_wait_loadcnt 0x7
	v_lshrrev_b32_e32 v16, 16, v6
	v_mul_f16_e32 v19, v59, v6
	v_pack_b32_f16 v15, v17, v15
	v_fmac_f16_e32 v4, v58, v5
	s_delay_alu instid0(VALU_DEP_4)
	v_mul_f16_e32 v5, v59, v16
	s_wait_loadcnt 0x6
	v_lshrrev_b32_e32 v17, 16, v8
	v_fma_f16 v16, v57, v16, -v19
	v_pack_b32_f16 v4, v4, v18
	s_wait_loadcnt 0x5
	v_lshrrev_b32_e32 v18, 16, v9
	v_fmac_f16_e32 v5, v57, v6
	v_mul_f16_e32 v6, v56, v17
	v_mul_f16_e32 v19, v54, v9
	ds_store_b32 v41, v4 offset:2420
	v_mul_f16_e32 v23, v56, v8
	v_pack_b32_f16 v4, v5, v16
	v_mul_f16_e32 v5, v54, v18
	v_fmac_f16_e32 v6, v53, v8
	v_fma_f16 v8, v52, v18, -v19
	s_wait_loadcnt 0x4
	v_lshrrev_b32_e32 v16, 16, v10
	v_mul_f16_e32 v18, v51, v10
	ds_store_2addr_b32 v41, v15, v4 offset1:110
	v_fmac_f16_e32 v5, v52, v9
	s_wait_loadcnt 0x3
	v_lshrrev_b32_e32 v4, 16, v11
	v_mul_f16_e32 v9, v51, v16
	v_fma_f16 v15, v50, v16, -v18
	v_mul_f16_e32 v16, v49, v11
	v_pack_b32_f16 v5, v5, v8
	v_mul_f16_e32 v8, v49, v4
	v_fma_f16 v17, v53, v17, -v23
	v_fmac_f16_e32 v9, v50, v10
	s_wait_loadcnt 0x2
	v_lshrrev_b32_e32 v10, 16, v12
	v_fma_f16 v4, v48, v4, -v16
	v_mul_f16_e32 v16, v47, v12
	v_fmac_f16_e32 v8, v48, v11
	s_wait_loadcnt 0x1
	v_lshrrev_b32_e32 v11, 16, v13
	s_wait_loadcnt 0x0
	v_lshrrev_b32_e32 v18, 16, v14
	v_pack_b32_f16 v6, v6, v17
	v_mul_f16_e32 v17, v47, v10
	v_fma_f16 v10, v46, v10, -v16
	v_mul_f16_e32 v16, v45, v13
	v_mul_f16_e32 v19, v45, v11
	;; [unrolled: 1-line block ×4, first 2 shown]
	v_fmac_f16_e32 v17, v46, v12
	v_fma_f16 v11, v44, v11, -v16
	v_fmac_f16_e32 v19, v44, v13
	v_fma_f16 v12, v42, v18, -v23
	v_fmac_f16_e32 v24, v42, v14
	v_pack_b32_f16 v9, v9, v15
	v_pack_b32_f16 v8, v8, v4
	v_add_nc_u32_e32 v4, 0xe00, v41
	v_pack_b32_f16 v11, v19, v11
	v_pack_b32_f16 v10, v17, v10
	;; [unrolled: 1-line block ×3, first 2 shown]
	ds_store_2addr_b32 v3, v6, v9 offset0:75 offset1:185
	ds_store_2addr_b32 v2, v5, v8 offset0:92 offset1:202
	ds_store_b32 v41, v11 offset:1760
	ds_store_2addr_b32 v4, v10, v12 offset0:39 offset1:149
	s_and_saveexec_b32 s12, vcc_lo
	s_cbranch_execz .LBB0_3
; %bb.2:
	v_add_co_u32 v0, s2, v0, s2
	s_wait_alu 0xf1ff
	v_add_co_ci_u32_e64 v1, s2, s3, v1, s2
	s_delay_alu instid0(VALU_DEP_2) | instskip(SKIP_1) | instid1(VALU_DEP_2)
	v_add_co_u32 v5, s2, v0, s10
	s_wait_alu 0xf1ff
	v_add_co_ci_u32_e64 v6, s2, s11, v1, s2
	s_clause 0x1
	global_load_b32 v7, v[20:21], off offset:2200
	global_load_b32 v8, v[20:21], off offset:4620
	global_load_b32 v0, v[0:1], off
	global_load_b32 v1, v[5:6], off
	s_wait_loadcnt 0x3
	v_lshrrev_b32_e32 v5, 16, v7
	s_wait_loadcnt 0x2
	v_lshrrev_b32_e32 v6, 16, v8
	s_wait_loadcnt 0x1
	v_lshrrev_b32_e32 v9, 16, v0
	s_wait_loadcnt 0x0
	v_lshrrev_b32_e32 v10, 16, v1
	v_mul_f16_e32 v11, v5, v0
	s_delay_alu instid0(VALU_DEP_3) | instskip(NEXT) | instid1(VALU_DEP_3)
	v_mul_f16_e32 v5, v5, v9
	v_mul_f16_e32 v12, v6, v10
	;; [unrolled: 1-line block ×3, first 2 shown]
	s_delay_alu instid0(VALU_DEP_4) | instskip(NEXT) | instid1(VALU_DEP_4)
	v_fma_f16 v9, v7, v9, -v11
	v_fmac_f16_e32 v5, v7, v0
	s_delay_alu instid0(VALU_DEP_4) | instskip(NEXT) | instid1(VALU_DEP_4)
	v_fmac_f16_e32 v12, v8, v1
	v_fma_f16 v0, v8, v10, -v6
	s_delay_alu instid0(VALU_DEP_3) | instskip(NEXT) | instid1(VALU_DEP_2)
	v_pack_b32_f16 v1, v5, v9
	v_pack_b32_f16 v0, v12, v0
	ds_store_b32 v41, v1 offset:2200
	ds_store_b32 v41, v0 offset:4620
.LBB0_3:
	s_wait_alu 0xfffe
	s_or_b32 exec_lo, exec_lo, s12
	v_add_nc_u32_e32 v0, 0x600, v41
	global_wb scope:SCOPE_SE
	s_wait_dscnt 0x0
	s_wait_kmcnt 0x0
	s_barrier_signal -1
	s_barrier_wait -1
	global_inv scope:SCOPE_SE
	ds_load_2addr_b32 v[6:7], v41 offset1:110
	ds_load_2addr_b32 v[0:1], v0 offset0:56 offset1:221
	ds_load_2addr_b32 v[8:9], v3 offset0:75 offset1:185
	;; [unrolled: 1-line block ×4, first 2 shown]
                                        ; implicit-def: $vgpr4
                                        ; implicit-def: $vgpr5
	s_and_saveexec_b32 s2, vcc_lo
	s_cbranch_execz .LBB0_5
; %bb.4:
	ds_load_b32 v4, v41 offset:2200
	ds_load_b32 v5, v41 offset:4620
.LBB0_5:
	s_wait_alu 0xfffe
	s_or_b32 exec_lo, exec_lo, s2
	s_load_b64 s[2:3], s[0:1], 0x8
	v_lshlrev_b16 v13, 1, v55
	v_add_co_u32 v24, null, 0x6e, v55
	v_add_co_u32 v23, null, 0xdc, v55
	;; [unrolled: 1-line block ×3, first 2 shown]
	s_wait_dscnt 0x3
	v_pk_add_f16 v12, v6, v1 neg_lo:[0,1] neg_hi:[0,1]
	s_wait_dscnt 0x0
	v_pk_add_f16 v5, v4, v5 neg_lo:[0,1] neg_hi:[0,1]
	v_pk_add_f16 v14, v2, v9 neg_lo:[0,1] neg_hi:[0,1]
	v_and_b32_e32 v9, 0xffff, v13
	v_pk_add_f16 v8, v7, v8 neg_lo:[0,1] neg_hi:[0,1]
	v_lshlrev_b32_e32 v73, 3, v55
	v_pk_add_f16 v10, v3, v10 neg_lo:[0,1] neg_hi:[0,1]
	v_pk_add_f16 v1, v0, v11 neg_lo:[0,1] neg_hi:[0,1]
	v_pk_fma_f16 v4, v4, 2.0, v5 op_sel_hi:[1,0,1] neg_lo:[0,0,1] neg_hi:[0,0,1]
	v_lshlrev_b32_e32 v65, 2, v9
	v_pk_fma_f16 v11, v6, 2.0, v12 op_sel_hi:[1,0,1] neg_lo:[0,0,1] neg_hi:[0,0,1]
	v_lshlrev_b32_e32 v66, 3, v24
	v_lshlrev_b32_e32 v68, 3, v23
	;; [unrolled: 1-line block ×3, first 2 shown]
	v_pk_fma_f16 v7, v7, 2.0, v8 op_sel_hi:[1,0,1] neg_lo:[0,0,1] neg_hi:[0,0,1]
	v_pk_fma_f16 v13, v2, 2.0, v14 op_sel_hi:[1,0,1] neg_lo:[0,0,1] neg_hi:[0,0,1]
	;; [unrolled: 1-line block ×4, first 2 shown]
	v_add_nc_u32_e32 v2, 0x800, v73
	global_wb scope:SCOPE_SE
	s_wait_kmcnt 0x0
	s_barrier_signal -1
	s_barrier_wait -1
	global_inv scope:SCOPE_SE
	ds_store_b64 v65, v[11:12]
	ds_store_b64 v66, v[7:8]
	;; [unrolled: 1-line block ×3, first 2 shown]
	ds_store_2addr_b64 v2, v[9:10], v[0:1] offset0:74 offset1:184
	s_and_saveexec_b32 s0, vcc_lo
	s_cbranch_execz .LBB0_7
; %bb.6:
	ds_store_b64 v67, v[4:5]
.LBB0_7:
	s_wait_alu 0xfffe
	s_or_b32 exec_lo, exec_lo, s0
	v_add_nc_u32_e32 v0, 0x200, v41
	v_add_nc_u32_e32 v1, 0x600, v41
	;; [unrolled: 1-line block ×4, first 2 shown]
	global_wb scope:SCOPE_SE
	s_wait_dscnt 0x0
	s_barrier_signal -1
	s_barrier_wait -1
	global_inv scope:SCOPE_SE
	ds_load_2addr_b32 v[6:7], v41 offset1:110
	ds_load_2addr_b32 v[16:17], v0 offset0:114 offset1:224
	ds_load_2addr_b32 v[12:13], v1 offset0:100 offset1:210
	;; [unrolled: 1-line block ×4, first 2 shown]
	v_cmp_gt_u16_e64 s0, 22, v55
                                        ; implicit-def: $vgpr14
                                        ; implicit-def: $vgpr26
                                        ; implicit-def: $vgpr27
                                        ; implicit-def: $vgpr25
                                        ; implicit-def: $vgpr28
	s_delay_alu instid0(VALU_DEP_1)
	s_and_saveexec_b32 s1, s0
	s_cbranch_execz .LBB0_9
; %bb.8:
	v_add_nc_u32_e32 v0, 0xb00, v41
	ds_load_2addr_b32 v[14:15], v0 offset1:242
	v_add_nc_u32_e32 v0, 0x340, v41
	ds_load_b32 v25, v41 offset:4752
	ds_load_2addr_b32 v[4:5], v0 offset0:12 offset1:254
	s_wait_dscnt 0x2
	v_lshrrev_b32_e32 v26, 16, v14
	v_lshrrev_b32_e32 v27, 16, v15
	s_wait_dscnt 0x1
	v_lshrrev_b32_e32 v28, 16, v25
.LBB0_9:
	s_wait_alu 0xfffe
	s_or_b32 exec_lo, exec_lo, s1
	v_and_b32_e32 v63, 1, v55
	v_lshrrev_b32_e32 v29, 1, v55
	v_lshrrev_b32_e32 v30, 1, v24
	s_wait_dscnt 0x3
	v_lshrrev_b32_e32 v32, 16, v16
	s_wait_dscnt 0x2
	v_lshrrev_b32_e32 v33, 16, v12
	v_lshlrev_b32_e32 v0, 4, v63
	s_wait_dscnt 0x1
	v_lshrrev_b32_e32 v34, 16, v10
	s_wait_dscnt 0x0
	v_lshrrev_b32_e32 v35, 16, v8
	v_mul_u32_u24_e32 v29, 10, v29
	v_mul_u32_u24_e32 v30, 10, v30
	global_load_b128 v[0:3], v0, s[2:3]
	v_lshrrev_b32_e32 v36, 16, v17
	v_lshrrev_b32_e32 v37, 16, v13
	;; [unrolled: 1-line block ×6, first 2 shown]
	v_or_b32_e32 v23, v29, v63
	v_or_b32_e32 v29, v30, v63
	v_lshrrev_b32_e32 v18, 16, v6
	v_lshrrev_b32_e32 v19, 16, v7
	v_lshrrev_b32_e32 v24, 16, v4
	v_lshlrev_b32_e32 v75, 2, v23
	v_lshlrev_b32_e32 v74, 2, v29
	global_wb scope:SCOPE_SE
	s_wait_loadcnt 0x0
	s_barrier_signal -1
	s_barrier_wait -1
	global_inv scope:SCOPE_SE
	v_lshrrev_b32_e32 v69, 16, v0
	v_lshrrev_b32_e32 v72, 16, v1
	v_lshrrev_b32_e32 v71, 16, v2
	v_lshrrev_b32_e32 v70, 16, v3
	s_delay_alu instid0(VALU_DEP_4)
	v_mul_f16_e32 v76, v32, v69
	v_mul_f16_e32 v77, v16, v69
	;; [unrolled: 1-line block ×24, first 2 shown]
	v_fma_f16 v16, v16, v0, -v76
	v_fmac_f16_e32 v77, v32, v0
	v_fma_f16 v12, v12, v1, -v78
	v_fmac_f16_e32 v79, v33, v1
	v_fma_f16 v32, v10, v2, -v80
	v_fmac_f16_e32 v81, v34, v2
	v_fma_f16 v33, v8, v3, -v82
	v_fmac_f16_e32 v83, v35, v3
	v_fma_f16 v17, v17, v0, -v84
	v_fma_f16 v13, v13, v1, -v86
	v_fmac_f16_e32 v87, v37, v1
	v_fma_f16 v11, v11, v2, -v88
	v_fmac_f16_e32 v89, v38, v2
	v_fmac_f16_e32 v85, v36, v0
	v_fma_f16 v34, v9, v3, -v90
	v_fmac_f16_e32 v93, v39, v3
	v_fma_f16 v9, v5, v0, -v91
	;; [unrolled: 2-line block ×5, first 2 shown]
	v_fmac_f16_e32 v23, v28, v3
	v_add_f16_e32 v14, v6, v16
	v_add_f16_e32 v15, v12, v32
	;; [unrolled: 1-line block ×3, first 2 shown]
	v_sub_f16_e32 v36, v12, v16
	v_sub_f16_e32 v37, v32, v33
	v_add_f16_e32 v39, v79, v81
	v_add_f16_e32 v80, v77, v83
	;; [unrolled: 1-line block ×7, first 2 shown]
	v_sub_f16_e32 v27, v77, v83
	v_sub_f16_e32 v25, v16, v12
	;; [unrolled: 1-line block ×3, first 2 shown]
	v_add_f16_e32 v38, v18, v77
	v_sub_f16_e32 v16, v16, v33
	v_sub_f16_e32 v40, v12, v32
	;; [unrolled: 1-line block ×6, first 2 shown]
	v_add_f16_e32 v97, v19, v85
	v_add_f16_e32 v104, v10, v8
	;; [unrolled: 1-line block ×6, first 2 shown]
	v_fma_f16 v14, -0.5, v15, v6
	v_fma_f16 v6, -0.5, v35, v6
	v_add_f16_e32 v35, v36, v37
	v_fma_f16 v36, -0.5, v39, v18
	v_sub_f16_e32 v28, v79, v81
	v_sub_f16_e32 v100, v85, v87
	;; [unrolled: 1-line block ×3, first 2 shown]
	v_fmac_f16_e32 v18, -0.5, v80
	v_sub_f16_e32 v88, v85, v93
	v_sub_f16_e32 v91, v17, v13
	;; [unrolled: 1-line block ×5, first 2 shown]
	v_add_f16_e32 v13, v84, v13
	v_fma_f16 v39, -0.5, v86, v7
	v_fma_f16 v84, -0.5, v98, v19
	v_sub_f16_e32 v90, v87, v89
	v_sub_f16_e32 v85, v87, v85
	;; [unrolled: 1-line block ×3, first 2 shown]
	v_fmac_f16_e32 v7, -0.5, v94
	v_fmac_f16_e32 v19, -0.5, v102
	v_sub_f16_e32 v92, v34, v11
	v_sub_f16_e32 v105, v31, v23
	;; [unrolled: 1-line block ×5, first 2 shown]
	v_add_f16_e32 v15, v25, v26
	v_add_f16_e32 v25, v38, v79
	v_add_f16_e32 v37, v76, v78
	v_add_f16_e32 v38, v77, v82
	v_add_f16_e32 v79, v97, v87
	v_fma_f16 v76, -0.5, v104, v4
	v_fma_f16 v26, -0.5, v109, v4
	v_fma_f16 v77, -0.5, v112, v24
	v_fma_f16 v78, -0.5, v117, v24
	v_add_f16_e32 v12, v12, v32
	v_fmamk_f16 v32, v27, 0x3b9c, v14
	v_fmamk_f16 v98, v16, 0xbb9c, v36
	v_add_f16_e32 v86, v100, v101
	v_fmamk_f16 v97, v28, 0xbb9c, v6
	v_fmac_f16_e32 v6, 0x3b9c, v28
	v_fmamk_f16 v100, v40, 0x3b9c, v18
	v_fmac_f16_e32 v18, 0xbb9c, v40
	v_fmac_f16_e32 v14, 0xbb9c, v27
	;; [unrolled: 1-line block ×3, first 2 shown]
	v_sub_f16_e32 v96, v11, v34
	v_add_f16_e32 v11, v13, v11
	v_fmamk_f16 v13, v88, 0x3b9c, v39
	v_fmamk_f16 v102, v17, 0xbb9c, v84
	v_add_f16_e32 v85, v85, v103
	v_fmamk_f16 v101, v90, 0xbb9c, v7
	v_fmac_f16_e32 v7, 0x3b9c, v90
	v_fmamk_f16 v103, v99, 0x3b9c, v19
	v_fmac_f16_e32 v19, 0xbb9c, v99
	v_sub_f16_e32 v107, v9, v10
	v_sub_f16_e32 v108, v5, v8
	;; [unrolled: 1-line block ×8, first 2 shown]
	v_add_f16_e32 v80, v91, v92
	v_add_f16_e32 v81, v25, v81
	v_fmac_f16_e32 v39, 0xbb9c, v88
	v_add_f16_e32 v89, v79, v89
	v_fmac_f16_e32 v84, 0x3b9c, v17
	v_fmamk_f16 v91, v105, 0x3b9c, v76
	v_fmac_f16_e32 v76, 0xbb9c, v105
	v_fmamk_f16 v25, v106, 0xbb9c, v26
	v_fmac_f16_e32 v26, 0x3b9c, v106
	v_fmamk_f16 v92, v113, 0xbb9c, v77
	v_fmac_f16_e32 v77, 0x3b9c, v113
	v_fmamk_f16 v79, v114, 0x3b9c, v78
	v_fmac_f16_e32 v78, 0xbb9c, v114
	v_fmac_f16_e32 v32, 0x38b4, v28
	;; [unrolled: 1-line block ×11, first 2 shown]
	v_add_f16_e32 v82, v95, v96
	v_fmac_f16_e32 v101, 0x38b4, v88
	v_fmac_f16_e32 v7, 0xb8b4, v88
	;; [unrolled: 1-line block ×4, first 2 shown]
	v_add_f16_e32 v87, v107, v108
	v_add_f16_e32 v94, v110, v111
	;; [unrolled: 1-line block ×6, first 2 shown]
	v_fmac_f16_e32 v39, 0xb8b4, v90
	v_fmac_f16_e32 v84, 0x38b4, v99
	;; [unrolled: 1-line block ×12, first 2 shown]
	v_add_f16_e32 v11, v11, v34
	v_add_f16_e32 v16, v89, v93
	v_fmac_f16_e32 v97, 0x34f2, v35
	v_fmac_f16_e32 v6, 0x34f2, v35
	;; [unrolled: 1-line block ×22, first 2 shown]
	v_pack_b32_f16 v12, v12, v27
	v_pack_b32_f16 v15, v32, v98
	;; [unrolled: 1-line block ×10, first 2 shown]
	ds_store_2addr_b32 v75, v12, v15 offset1:2
	ds_store_2addr_b32 v75, v16, v6 offset0:4 offset1:6
	ds_store_b32 v75, v14 offset:32
	ds_store_2addr_b32 v74, v11, v13 offset1:2
	ds_store_2addr_b32 v74, v17, v7 offset0:4 offset1:6
	ds_store_b32 v74, v18 offset:32
	s_and_saveexec_b32 s1, s0
	s_cbranch_execz .LBB0_11
; %bb.10:
	v_add_f16_e32 v6, v24, v31
	v_add_f16_e32 v4, v4, v9
	v_mul_u32_u24_e32 v7, 10, v64
	v_perm_b32 v9, v78, v26, 0x5040100
	s_delay_alu instid0(VALU_DEP_4) | instskip(NEXT) | instid1(VALU_DEP_4)
	v_add_f16_e32 v6, v6, v30
	v_add_f16_e32 v4, v4, v10
	s_delay_alu instid0(VALU_DEP_4) | instskip(NEXT) | instid1(VALU_DEP_3)
	v_or_b32_e32 v7, v7, v63
	v_add_f16_e32 v6, v6, v29
	s_delay_alu instid0(VALU_DEP_3) | instskip(SKIP_1) | instid1(VALU_DEP_4)
	v_add_f16_e32 v4, v4, v8
	v_perm_b32 v8, v79, v25, 0x5040100
	v_lshlrev_b32_e32 v7, 2, v7
	s_delay_alu instid0(VALU_DEP_4) | instskip(NEXT) | instid1(VALU_DEP_4)
	v_add_f16_e32 v6, v6, v23
	v_add_f16_e32 v4, v4, v5
	v_perm_b32 v5, v92, v91, 0x5040100
	s_delay_alu instid0(VALU_DEP_2)
	v_pack_b32_f16 v4, v4, v6
	v_perm_b32 v6, v77, v76, 0x5040100
	ds_store_2addr_b32 v7, v8, v9 offset0:4 offset1:6
	ds_store_2addr_b32 v7, v4, v5 offset1:2
	ds_store_b32 v7, v6 offset:32
.LBB0_11:
	s_wait_alu 0xfffe
	s_or_b32 exec_lo, exec_lo, s1
	v_and_b32_e32 v4, 0xff, v55
	global_wb scope:SCOPE_SE
	s_wait_dscnt 0x0
	s_barrier_signal -1
	s_barrier_wait -1
	global_inv scope:SCOPE_SE
	v_mul_lo_u16 v4, 0xcd, v4
	v_add_nc_u32_e32 v33, 0x200, v41
	v_add_nc_u32_e32 v31, 0x600, v41
	;; [unrolled: 1-line block ×4, first 2 shown]
	v_lshrrev_b16 v35, 11, v4
	s_delay_alu instid0(VALU_DEP_1) | instskip(SKIP_2) | instid1(VALU_DEP_3)
	v_mul_lo_u16 v4, v35, 10
	v_and_b32_e32 v37, 0xffff, v35
	v_mad_co_u64_u32 v[35:36], null, v55, 40, s[2:3]
	v_sub_nc_u16 v4, v55, v4
	s_delay_alu instid0(VALU_DEP_3) | instskip(NEXT) | instid1(VALU_DEP_2)
	v_mul_u32_u24_e32 v37, 0x6e, v37
	v_and_b32_e32 v29, 0xff, v4
	s_delay_alu instid0(VALU_DEP_1) | instskip(NEXT) | instid1(VALU_DEP_3)
	v_mad_co_u64_u32 v[12:13], null, v29, 40, s[2:3]
	v_add_lshl_u32 v80, v37, v29, 2
	s_add_nc_u64 s[2:3], s[16:17], 0x12e8
	s_clause 0x2
	global_load_b128 v[8:11], v[12:13], off offset:32
	global_load_b128 v[4:7], v[12:13], off offset:48
	global_load_b64 v[23:24], v[12:13], off offset:64
	ds_load_2addr_b32 v[12:13], v41 offset1:110
	ds_load_b32 v30, v41 offset:4400
	ds_load_2addr_b32 v[27:28], v33 offset0:92 offset1:202
	ds_load_2addr_b32 v[18:19], v31 offset0:56 offset1:166
	;; [unrolled: 1-line block ×4, first 2 shown]
	global_wb scope:SCOPE_SE
	s_wait_loadcnt_dscnt 0x0
	s_barrier_signal -1
	s_barrier_wait -1
	global_inv scope:SCOPE_SE
	v_lshrrev_b32_e32 v39, 16, v13
	v_lshrrev_b32_e32 v40, 16, v30
	;; [unrolled: 1-line block ×16, first 2 shown]
	v_mul_f16_e32 v29, v39, v102
	v_mul_f16_e32 v37, v13, v102
	v_lshrrev_b32_e32 v98, 16, v4
	v_lshrrev_b32_e32 v95, 16, v7
	v_mul_f16_e32 v89, v81, v101
	v_mul_f16_e32 v90, v27, v101
	;; [unrolled: 1-line block ×4, first 2 shown]
	v_fma_f16 v13, v13, v8, -v29
	v_fmac_f16_e32 v37, v39, v8
	v_lshrrev_b32_e32 v99, 16, v11
	v_lshrrev_b32_e32 v97, 16, v5
	;; [unrolled: 1-line block ×3, first 2 shown]
	v_mul_f16_e32 v118, v30, v94
	v_mul_f16_e32 v103, v82, v100
	;; [unrolled: 1-line block ×6, first 2 shown]
	v_fma_f16 v27, v27, v9, -v89
	v_fmac_f16_e32 v90, v81, v9
	v_fma_f16 v15, v15, v23, -v115
	v_fma_f16 v29, v30, v24, -v117
	v_add_f16_e32 v30, v12, v13
	v_add_f16_e32 v39, v38, v37
	v_mul_f16_e32 v105, v83, v99
	v_mul_f16_e32 v106, v18, v99
	;; [unrolled: 1-line block ×8, first 2 shown]
	v_fmac_f16_e32 v118, v40, v24
	v_fma_f16 v28, v28, v10, -v103
	v_fmac_f16_e32 v104, v82, v10
	v_fmac_f16_e32 v108, v84, v4
	v_fma_f16 v14, v14, v7, -v113
	v_add_f16_e32 v82, v27, v15
	v_sub_f16_e32 v84, v27, v15
	v_add_f16_e32 v27, v30, v27
	v_add_f16_e32 v30, v39, v90
	v_fma_f16 v18, v18, v11, -v105
	v_fmac_f16_e32 v106, v83, v11
	v_fma_f16 v19, v19, v4, -v107
	v_fma_f16 v16, v16, v5, -v109
	v_fmac_f16_e32 v110, v85, v5
	v_fma_f16 v17, v17, v6, -v111
	v_fmac_f16_e32 v112, v86, v6
	v_fmac_f16_e32 v114, v87, v7
	;; [unrolled: 1-line block ×3, first 2 shown]
	v_add_f16_e32 v40, v13, v29
	v_add_f16_e32 v81, v37, v118
	v_sub_f16_e32 v13, v13, v29
	v_sub_f16_e32 v37, v37, v118
	v_add_f16_e32 v86, v28, v14
	v_sub_f16_e32 v88, v28, v14
	v_add_f16_e32 v27, v27, v28
	v_add_f16_e32 v28, v30, v104
	;; [unrolled: 1-line block ×3, first 2 shown]
	v_sub_f16_e32 v85, v90, v116
	v_sub_f16_e32 v89, v104, v114
	;; [unrolled: 1-line block ×6, first 2 shown]
	v_mul_f16_e32 v39, 0xb853, v37
	v_mul_f16_e32 v90, 0xb853, v13
	;; [unrolled: 1-line block ×10, first 2 shown]
	v_add_f16_e32 v103, v18, v17
	v_add_f16_e32 v18, v27, v18
	;; [unrolled: 1-line block ×7, first 2 shown]
	v_mul_f16_e32 v125, 0xbb47, v85
	v_mul_f16_e32 v126, 0xbb47, v84
	;; [unrolled: 1-line block ×3, first 2 shown]
	v_mul_f16_e64 v128, 0xba0c, v84
	v_mul_f16_e64 v129, 0x3482, v85
	v_mul_f16_e64 v130, 0x3482, v84
	v_mul_f16_e64 v131, 0x3beb, v85
	v_mul_f16_e64 v132, 0x3beb, v84
	v_mul_f16_e32 v85, 0x3853, v85
	v_mul_f16_e32 v84, 0x3853, v84
	v_mul_f16_e64 v133, 0xbbeb, v89
	v_mul_f16_e64 v134, 0xbbeb, v88
	v_mul_f16_e64 v135, 0x3482, v89
	v_mul_f16_e64 v136, 0x3482, v88
	v_mul_f16_e64 v137, 0x3b47, v89
	v_mul_f16_e64 v138, 0x3b47, v88
	v_mul_f16_e64 v139, 0xb853, v89
	v_mul_f16_e64 v140, 0xb853, v88
	v_mul_f16_e32 v89, 0xba0c, v89
	v_mul_f16_e32 v88, 0xba0c, v88
	v_mul_f16_e64 v141, 0xba0c, v109
	v_mul_f16_e64 v142, 0xba0c, v107
	v_mul_f16_e64 v143, 0x3beb, v109
	;; [unrolled: 10-line block ×3, first 2 shown]
	v_mul_f16_e64 v152, 0x3853, v113
	v_mul_f16_e64 v153, 0xba0c, v115
	;; [unrolled: 1-line block ×3, first 2 shown]
	v_mul_f16_e32 v115, 0xbbeb, v115
	v_mul_f16_e64 v155, 0xba0c, v113
	v_mul_f16_e64 v156, 0x3b47, v113
	v_mul_f16_e32 v113, 0xbbeb, v113
	v_fma_f16 v30, v40, 0x3abb, -v39
	v_fmamk_f16 v104, v81, 0x3abb, v90
	v_fmac_f16_e32 v39, 0x3abb, v40
	v_fma_f16 v90, v81, 0x3abb, -v90
	v_fma_f16 v157, v40, 0x36a6, -v119
	v_fma_f16 v158, 0x36a6, v81, v120
	v_fmac_f16_e32 v119, 0x36a6, v40
	v_fma_f16 v120, v81, 0x36a6, -v120
	v_fma_f16 v159, v40, 0xb08e, -v121
	v_fma_f16 v160, 0xb08e, v81, v122
	;; [unrolled: 4-line block ×4, first 2 shown]
	v_fmac_f16_e32 v37, 0xbbad, v40
	v_fma_f16 v13, v81, 0xbbad, -v13
	v_add_f16_e32 v18, v18, v19
	v_add_f16_e32 v19, v27, v108
	v_fma_f16 v40, v82, 0x36a6, -v125
	v_fmamk_f16 v81, v83, 0x36a6, v126
	v_fmac_f16_e32 v125, 0x36a6, v82
	v_fma_f16 v126, v83, 0x36a6, -v126
	v_fma_f16 v165, v82, 0xb93d, -v127
	v_fma_f16 v166, 0xb93d, v83, v128
	v_fmac_f16_e32 v127, 0xb93d, v82
	v_fma_f16 v128, v83, 0xb93d, -v128
	v_fma_f16 v167, v82, 0xbbad, -v129
	v_fma_f16 v168, 0xbbad, v83, v130
	v_fmac_f16_e64 v129, 0xbbad, v82
	v_fma_f16 v130, v83, 0xbbad, -v130
	v_fma_f16 v169, v82, 0xb08e, -v131
	v_fma_f16 v170, 0xb08e, v83, v132
	v_fmac_f16_e64 v131, 0xb08e, v82
	v_fma_f16 v132, v83, 0xb08e, -v132
	v_fma_f16 v171, v82, 0x3abb, -v85
	v_fma_f16 v172, 0x3abb, v83, v84
	v_fmac_f16_e32 v85, 0x3abb, v82
	v_fma_f16 v82, v83, 0x3abb, -v84
	v_fma_f16 v83, v86, 0xb08e, -v133
	v_fma_f16 v84, 0xb08e, v87, v134
	v_fmac_f16_e64 v133, 0xb08e, v86
	v_fma_f16 v134, v87, 0xb08e, -v134
	v_fma_f16 v173, v86, 0xbbad, -v135
	v_fma_f16 v174, 0xbbad, v87, v136
	v_fmac_f16_e64 v135, 0xbbad, v86
	;; [unrolled: 4-line block ×4, first 2 shown]
	v_fma_f16 v140, v87, 0x3abb, -v140
	v_fma_f16 v179, v86, 0xb93d, -v89
	v_fma_f16 v180, 0xb93d, v87, v88
	v_fmac_f16_e32 v89, 0xb93d, v86
	v_fma_f16 v86, v87, 0xb93d, -v88
	v_fma_f16 v87, v103, 0xb93d, -v141
	v_fma_f16 v88, 0xb93d, v105, v142
	v_fmac_f16_e64 v141, 0xb93d, v103
	v_fma_f16 v142, v105, 0xb93d, -v142
	v_fma_f16 v181, v103, 0xb08e, -v143
	v_fma_f16 v182, 0xb08e, v105, v144
	v_fmac_f16_e64 v143, 0xb08e, v103
	;; [unrolled: 4-line block ×4, first 2 shown]
	v_fma_f16 v148, v105, 0xbbad, -v148
	v_fma_f16 v187, v103, 0x36a6, -v109
	v_fma_f16 v188, 0x36a6, v105, v107
	v_fmac_f16_e32 v109, 0x36a6, v103
	v_fma_f16 v103, v105, 0x36a6, -v107
	v_fma_f16 v105, v111, 0xbbad, -v149
	v_fmac_f16_e64 v149, 0xbbad, v111
	v_fma_f16 v107, v111, 0x3abb, -v151
	v_fmac_f16_e64 v151, 0x3abb, v111
	;; [unrolled: 2-line block ×4, first 2 shown]
	v_fma_f16 v191, v111, 0xb08e, -v115
	v_fmac_f16_e32 v115, 0xb08e, v111
	v_fma_f16 v111, 0xbbad, v117, v150
	v_fma_f16 v150, v117, 0xbbad, -v150
	v_fma_f16 v192, 0x3abb, v117, v152
	v_fma_f16 v152, v117, 0x3abb, -v152
	;; [unrolled: 2-line block ×5, first 2 shown]
	v_add_f16_e32 v30, v12, v30
	v_add_f16_e32 v39, v12, v39
	v_add_f16_e64 v117, v12, v157
	v_add_f16_e32 v119, v12, v119
	v_add_f16_e64 v157, v12, v159
	;; [unrolled: 2-line block ×4, first 2 shown]
	v_add_f16_e32 v12, v12, v37
	v_add_f16_e32 v28, v38, v104
	;; [unrolled: 1-line block ×3, first 2 shown]
	v_add_f16_e64 v90, v38, v158
	v_add_f16_e32 v104, v38, v120
	v_add_f16_e64 v106, v38, v160
	v_add_f16_e32 v120, v38, v122
	;; [unrolled: 2-line block ×4, first 2 shown]
	v_add_f16_e32 v16, v18, v16
	v_add_f16_e32 v18, v19, v110
	;; [unrolled: 1-line block ×6, first 2 shown]
	v_add_f16_e64 v38, v165, v117
	v_add_f16_e64 v39, v166, v90
	v_add_f16_e32 v40, v127, v119
	v_add_f16_e64 v81, v128, v104
	v_add_f16_e64 v90, v167, v157
	;; [unrolled: 1-line block ×11, first 2 shown]
	v_add_f16_e32 v12, v85, v12
	v_add_f16_e32 v13, v82, v13
	v_add_f16_e32 v16, v16, v17
	v_add_f16_e32 v17, v18, v112
	v_add_f16_e32 v19, v83, v27
	v_add_f16_e32 v27, v84, v28
	v_add_f16_e64 v28, v133, v30
	v_add_f16_e64 v30, v134, v37
	;; [unrolled: 1-line block ×16, first 2 shown]
	v_add_f16_e32 v12, v89, v12
	v_add_f16_e32 v13, v86, v13
	;; [unrolled: 1-line block ×6, first 2 shown]
	v_add_f16_e64 v27, v141, v28
	v_add_f16_e64 v28, v142, v30
	;; [unrolled: 1-line block ×16, first 2 shown]
	v_add_f16_e32 v12, v109, v12
	v_add_f16_e32 v13, v103, v13
	;; [unrolled: 1-line block ×6, first 2 shown]
	v_add_f16_e64 v19, v149, v27
	v_add_f16_e64 v27, v150, v28
	v_add_f16_e32 v28, v107, v30
	v_add_f16_e64 v30, v192, v37
	v_add_f16_e64 v37, v151, v38
	;; [unrolled: 1-line block ×13, first 2 shown]
	v_add_f16_e32 v12, v115, v12
	v_add_f16_e32 v13, v113, v13
	;; [unrolled: 1-line block ×4, first 2 shown]
	v_pack_b32_f16 v16, v17, v18
	v_pack_b32_f16 v17, v28, v30
	;; [unrolled: 1-line block ×11, first 2 shown]
	ds_store_2addr_b32 v80, v17, v18 offset0:20 offset1:30
	ds_store_2addr_b32 v80, v28, v30 offset0:40 offset1:50
	;; [unrolled: 1-line block ×4, first 2 shown]
	ds_store_b32 v80, v19 offset:400
	ds_store_2addr_b32 v80, v14, v16 offset1:10
	global_wb scope:SCOPE_SE
	s_wait_dscnt 0x0
	s_barrier_signal -1
	s_barrier_wait -1
	global_inv scope:SCOPE_SE
	s_clause 0x2
	global_load_b128 v[16:19], v[35:36], off offset:432
	global_load_b128 v[12:15], v[35:36], off offset:448
	global_load_b64 v[27:28], v[35:36], off offset:464
	ds_load_2addr_b32 v[29:30], v41 offset1:110
	ds_load_2addr_b32 v[109:110], v33 offset0:92 offset1:202
	ds_load_2addr_b32 v[113:114], v31 offset0:56 offset1:166
	;; [unrolled: 1-line block ×4, first 2 shown]
	ds_load_b32 v119, v41 offset:4400
	s_wait_dscnt 0x5
	v_lshrrev_b32_e32 v38, 16, v30
	s_wait_dscnt 0x4
	v_lshrrev_b32_e32 v40, 16, v109
	v_lshrrev_b32_e32 v105, 16, v110
	s_wait_dscnt 0x3
	v_lshrrev_b32_e32 v107, 16, v113
	v_lshrrev_b32_e32 v120, 16, v114
	;; [unrolled: 1-line block ×3, first 2 shown]
	s_wait_dscnt 0x1
	v_lshrrev_b32_e32 v123, 16, v117
	s_wait_dscnt 0x0
	v_lshrrev_b32_e32 v125, 16, v119
	v_lshrrev_b32_e32 v122, 16, v116
	;; [unrolled: 1-line block ×4, first 2 shown]
	s_wait_loadcnt 0x2
	v_lshrrev_b32_e32 v90, 16, v16
	v_lshrrev_b32_e32 v89, 16, v17
	;; [unrolled: 1-line block ×4, first 2 shown]
	s_wait_loadcnt 0x1
	v_lshrrev_b32_e32 v86, 16, v12
	v_mul_f16_e32 v112, v38, v90
	v_mul_f16_e32 v126, v30, v90
	v_lshrrev_b32_e32 v83, 16, v15
	s_wait_loadcnt 0x0
	v_lshrrev_b32_e32 v82, 16, v28
	v_mul_f16_e32 v127, v40, v89
	v_mul_f16_e64 v128, v109, v89
	v_mul_f16_e64 v129, v105, v88
	;; [unrolled: 1-line block ×4, first 2 shown]
	v_fma_f16 v137, v30, v16, -v112
	v_fmac_f16_e32 v126, v38, v16
	v_lshrrev_b32_e32 v84, 16, v14
	v_lshrrev_b32_e32 v81, 16, v27
	v_mul_f16_e32 v111, v110, v88
	v_mul_f16_e32 v108, v113, v87
	;; [unrolled: 1-line block ×3, first 2 shown]
	v_mul_f16_e64 v134, v123, v83
	v_mul_f16_e32 v37, v117, v83
	v_mul_f16_e64 v136, v125, v82
	v_mul_f16_e32 v35, v119, v82
	v_fma_f16 v127, v109, v17, -v127
	v_fmac_f16_e64 v128, v40, v17
	v_fma_f16 v112, v110, v18, -v129
	v_fma_f16 v110, v113, v19, -v130
	;; [unrolled: 1-line block ×3, first 2 shown]
	v_add_f16_e64 v113, v29, v137
	v_add_f16_e32 v114, v103, v126
	v_lshrrev_b32_e32 v85, 16, v13
	v_mul_f16_e64 v133, v122, v84
	v_mul_f16_e32 v39, v116, v84
	v_mul_f16_e64 v135, v124, v81
	v_mul_f16_e32 v36, v118, v81
	v_fmac_f16_e32 v111, v105, v18
	v_fma_f16 v40, v117, v15, -v134
	v_fmac_f16_e32 v37, v123, v15
	v_fma_f16 v30, v119, v28, -v136
	v_fmac_f16_e32 v35, v125, v28
	v_add_f16_e32 v113, v113, v127
	v_add_f16_e64 v114, v114, v128
	v_mul_f16_e64 v132, v121, v85
	v_mul_f16_e32 v104, v115, v85
	v_fmac_f16_e32 v108, v107, v19
	v_fma_f16 v105, v116, v14, -v133
	v_fmac_f16_e32 v39, v122, v14
	v_fma_f16 v38, v118, v27, -v135
	v_fmac_f16_e32 v36, v124, v27
	v_add_f16_e32 v116, v126, v35
	v_sub_f16_e64 v117, v137, v30
	v_sub_f16_e32 v118, v126, v35
	v_add_f16_e32 v123, v112, v40
	v_add_f16_e32 v124, v111, v37
	v_sub_f16_e32 v125, v112, v40
	v_sub_f16_e32 v126, v111, v37
	v_add_f16_e32 v112, v113, v112
	v_add_f16_e32 v111, v114, v111
	v_fmac_f16_e32 v106, v120, v12
	v_fma_f16 v107, v115, v13, -v132
	v_fmac_f16_e32 v104, v121, v13
	v_add_f16_e64 v115, v137, v30
	v_add_f16_e32 v119, v127, v38
	v_add_f16_e64 v120, v128, v36
	v_sub_f16_e32 v121, v127, v38
	v_sub_f16_e64 v122, v128, v36
	v_add_f16_e64 v129, v110, v105
	v_sub_f16_e64 v130, v110, v105
	v_sub_f16_e64 v131, v108, v39
	v_add_f16_e64 v132, v108, v39
	v_mul_f16_e32 v127, 0xb853, v118
	v_mul_f16_e64 v128, 0xb853, v117
	v_add_f16_e32 v110, v112, v110
	v_add_f16_e32 v108, v111, v108
	v_sub_f16_e64 v133, v106, v104
	v_sub_f16_e64 v135, v109, v107
	v_mul_f16_e64 v137, 0xbb47, v118
	v_mul_f16_e64 v138, 0xbb47, v117
	;; [unrolled: 1-line block ×5, first 2 shown]
	v_mul_f16_e32 v118, 0xb482, v118
	v_mul_f16_e64 v142, 0xba0c, v117
	v_mul_f16_e32 v117, 0xb482, v117
	v_add_f16_e64 v134, v109, v107
	v_add_f16_e64 v136, v106, v104
	v_mul_f16_e64 v143, 0xbb47, v122
	v_mul_f16_e64 v144, 0xbb47, v121
	v_fma_f16 v113, v115, 0x3abb, -v127
	v_fma_f16 v114, 0x3abb, v116, v128
	v_add_f16_e32 v109, v110, v109
	v_add_f16_e32 v106, v108, v106
	v_mul_f16_e64 v145, 0xba0c, v122
	v_mul_f16_e64 v146, 0xba0c, v121
	;; [unrolled: 1-line block ×6, first 2 shown]
	v_mul_f16_e32 v122, 0x3853, v122
	v_mul_f16_e32 v121, 0x3853, v121
	v_mul_f16_e64 v151, 0xbbeb, v126
	v_mul_f16_e64 v152, 0xbbeb, v125
	;; [unrolled: 1-line block ×8, first 2 shown]
	v_mul_f16_e32 v126, 0xba0c, v126
	v_mul_f16_e32 v125, 0xba0c, v125
	v_mul_f16_e64 v159, 0xba0c, v131
	v_mul_f16_e64 v160, 0xba0c, v130
	;; [unrolled: 1-line block ×20, first 2 shown]
	v_fmac_f16_e32 v127, 0x3abb, v115
	v_fma_f16 v128, v116, 0x3abb, -v128
	v_fma_f16 v175, v115, 0x36a6, -v137
	v_fma_f16 v176, 0x36a6, v116, v138
	v_fmac_f16_e64 v137, 0x36a6, v115
	v_fma_f16 v138, v116, 0x36a6, -v138
	v_fma_f16 v177, v115, 0xb08e, -v139
	v_fma_f16 v178, 0xb08e, v116, v140
	v_fmac_f16_e64 v139, 0xb08e, v115
	v_fma_f16 v179, v115, 0xb93d, -v141
	v_fmac_f16_e64 v141, 0xb93d, v115
	v_fma_f16 v181, v115, 0xbbad, -v118
	v_fmac_f16_e32 v118, 0xbbad, v115
	v_fma_f16 v140, v116, 0xb08e, -v140
	v_fma_f16 v180, 0xb93d, v116, v142
	v_fma_f16 v142, v116, 0xb93d, -v142
	v_fma_f16 v182, 0xbbad, v116, v117
	v_fma_f16 v115, v116, 0xbbad, -v117
	v_fma_f16 v116, v119, 0x36a6, -v143
	v_fma_f16 v117, 0x36a6, v120, v144
	v_add_f16_e32 v113, v29, v113
	v_add_f16_e32 v111, v103, v114
	;; [unrolled: 1-line block ×4, first 2 shown]
	v_fmac_f16_e64 v143, 0x36a6, v119
	v_fma_f16 v144, v120, 0x36a6, -v144
	v_fma_f16 v183, v119, 0xb93d, -v145
	v_fma_f16 v184, 0xb93d, v120, v146
	v_fmac_f16_e64 v145, 0xb93d, v119
	v_fma_f16 v146, v120, 0xb93d, -v146
	v_fma_f16 v185, v119, 0xbbad, -v147
	v_fma_f16 v186, 0xbbad, v120, v148
	;; [unrolled: 4-line block ×4, first 2 shown]
	v_fmac_f16_e32 v122, 0x3abb, v119
	v_fma_f16 v119, v120, 0x3abb, -v121
	v_fma_f16 v120, v123, 0xb08e, -v151
	v_fma_f16 v121, 0xb08e, v124, v152
	v_fmac_f16_e64 v151, 0xb08e, v123
	v_fma_f16 v152, v124, 0xb08e, -v152
	v_fma_f16 v191, v123, 0xbbad, -v153
	v_fma_f16 v192, 0xbbad, v124, v154
	v_fmac_f16_e64 v153, 0xbbad, v123
	;; [unrolled: 4-line block ×4, first 2 shown]
	v_fma_f16 v158, v124, 0x3abb, -v158
	v_fma_f16 v197, v123, 0xb93d, -v126
	v_fma_f16 v198, 0xb93d, v124, v125
	v_fmac_f16_e32 v126, 0xb93d, v123
	v_fma_f16 v123, v124, 0xb93d, -v125
	v_fma_f16 v124, v129, 0xb93d, -v159
	v_fmac_f16_e64 v159, 0xb93d, v129
	v_fma_f16 v125, v129, 0xb08e, -v161
	v_fmac_f16_e64 v161, 0xb08e, v129
	;; [unrolled: 2-line block ×5, first 2 shown]
	v_fma_f16 v129, 0xb93d, v132, v160
	v_fma_f16 v160, v132, 0xb93d, -v160
	v_fma_f16 v202, 0xb08e, v132, v162
	v_fma_f16 v162, v132, 0xb08e, -v162
	;; [unrolled: 2-line block ×5, first 2 shown]
	v_fma_f16 v132, v134, 0xbbad, -v167
	v_fmac_f16_e64 v167, 0xbbad, v134
	v_fma_f16 v206, v134, 0x3abb, -v168
	v_fmac_f16_e64 v168, 0x3abb, v134
	;; [unrolled: 2-line block ×5, first 2 shown]
	v_fma_f16 v134, 0xbbad, v136, v171
	v_fma_f16 v171, v136, 0xbbad, -v171
	v_fma_f16 v210, 0x3abb, v136, v172
	v_fma_f16 v172, v136, 0x3abb, -v172
	;; [unrolled: 2-line block ×5, first 2 shown]
	v_add_f16_e32 v127, v29, v127
	v_add_f16_e64 v136, v29, v175
	v_add_f16_e64 v137, v29, v137
	;; [unrolled: 1-line block ×7, first 2 shown]
	v_add_f16_e32 v29, v29, v118
	v_add_f16_e64 v112, v103, v128
	v_add_f16_e64 v114, v103, v176
	;; [unrolled: 1-line block ×8, first 2 shown]
	v_add_f16_e32 v103, v103, v115
	v_add_f16_e32 v108, v116, v113
	v_add_f16_e32 v110, v117, v111
	v_add_f16_e32 v105, v107, v105
	v_add_f16_e32 v39, v104, v39
	v_add_f16_e64 v111, v143, v127
	v_add_f16_e64 v112, v144, v112
	;; [unrolled: 1-line block ×16, first 2 shown]
	v_add_f16_e32 v29, v122, v29
	v_add_f16_e32 v103, v119, v103
	;; [unrolled: 1-line block ×6, first 2 shown]
	v_add_f16_e64 v109, v151, v111
	v_add_f16_e64 v110, v152, v112
	;; [unrolled: 1-line block ×16, first 2 shown]
	v_add_f16_e32 v29, v126, v29
	v_add_f16_e32 v103, v123, v103
	;; [unrolled: 1-line block ×3, first 2 shown]
	v_add_f16_e64 v106, v129, v108
	v_add_f16_e32 v38, v40, v38
	v_add_f16_e32 v36, v37, v36
	v_add_f16_e64 v107, v159, v109
	v_add_f16_e64 v108, v160, v110
	v_add_f16_e32 v109, v125, v111
	v_add_f16_e64 v110, v202, v112
	v_add_f16_e64 v111, v161, v113
	;; [unrolled: 1-line block ×17, first 2 shown]
	v_add_f16_e32 v30, v38, v30
	v_add_f16_e32 v35, v36, v35
	v_add_f16_e64 v105, v206, v109
	v_add_f16_e64 v106, v210, v110
	;; [unrolled: 1-line block ×18, first 2 shown]
	v_pack_b32_f16 v39, v39, v104
	v_pack_b32_f16 v30, v30, v35
	;; [unrolled: 1-line block ×11, first 2 shown]
	ds_store_2addr_b32 v41, v30, v39 offset1:110
	ds_store_2addr_b32 v33, v40, v36 offset0:92 offset1:202
	ds_store_2addr_b32 v31, v38, v104 offset0:56 offset1:166
	;; [unrolled: 1-line block ×4, first 2 shown]
	ds_store_b32 v41, v107 offset:4400
	global_wb scope:SCOPE_SE
	s_wait_dscnt 0x0
	s_barrier_signal -1
	s_barrier_wait -1
	global_inv scope:SCOPE_SE
	s_clause 0x9
	global_load_b32 v30, v[20:21], off offset:4840
	global_load_b32 v108, v41, s[2:3] offset:440
	global_load_b32 v109, v41, s[2:3] offset:2420
	;; [unrolled: 1-line block ×9, first 2 shown]
	ds_load_2addr_b32 v[35:36], v41 offset1:110
	v_add_nc_u32_e32 v117, 0x800, v41
	v_add_nc_u32_e32 v118, 0x400, v41
	s_wait_dscnt 0x0
	v_lshrrev_b32_e32 v37, 16, v35
	s_wait_loadcnt 0x8
	v_lshrrev_b32_e32 v106, 16, v108
	s_wait_loadcnt 0x7
	;; [unrolled: 2-line block ×5, first 2 shown]
	v_lshrrev_b32_e32 v124, 16, v112
	v_mul_f16_e32 v122, v36, v106
	v_lshrrev_b32_e32 v38, 16, v30
	s_wait_loadcnt 0x0
	v_lshrrev_b32_e32 v125, 16, v116
	s_delay_alu instid0(VALU_DEP_2) | instskip(SKIP_1) | instid1(VALU_DEP_2)
	v_mul_f16_e32 v39, v37, v38
	v_mul_f16_e32 v38, v35, v38
	v_fma_f16 v35, v35, v30, -v39
	s_delay_alu instid0(VALU_DEP_2) | instskip(SKIP_1) | instid1(VALU_DEP_2)
	v_fmac_f16_e32 v38, v37, v30
	v_add_nc_u32_e32 v30, 0xe00, v41
	v_pack_b32_f16 v35, v35, v38
	ds_store_b32 v41, v35
	v_lshrrev_b32_e32 v35, 16, v36
	ds_load_2addr_b32 v[37:38], v31 offset0:56 offset1:221
	ds_load_2addr_b32 v[39:40], v34 offset0:75 offset1:185
	;; [unrolled: 1-line block ×3, first 2 shown]
	v_mul_f16_e32 v121, v35, v106
	ds_load_2addr_b32 v[106:107], v30 offset0:39 offset1:149
	v_fmac_f16_e32 v122, v35, v108
	v_lshrrev_b32_e32 v35, 16, v113
	v_fma_f16 v36, v36, v108, -v121
	v_lshrrev_b32_e32 v108, 16, v114
	v_lshrrev_b32_e32 v121, 16, v115
	s_delay_alu instid0(VALU_DEP_3)
	v_pack_b32_f16 v36, v36, v122
	s_wait_dscnt 0x3
	v_lshrrev_b32_e32 v122, 16, v38
	s_wait_dscnt 0x2
	v_lshrrev_b32_e32 v127, 16, v39
	v_mul_f16_e32 v126, v38, v119
	s_wait_dscnt 0x1
	v_lshrrev_b32_e32 v129, 16, v104
	v_lshrrev_b32_e32 v131, 16, v40
	;; [unrolled: 1-line block ×3, first 2 shown]
	s_wait_dscnt 0x0
	v_lshrrev_b32_e32 v135, 16, v106
	v_lshrrev_b32_e32 v137, 16, v37
	;; [unrolled: 1-line block ×3, first 2 shown]
	v_mul_f16_e64 v128, v39, v120
	v_mul_f16_e32 v119, v122, v119
	v_mul_f16_e32 v120, v127, v120
	v_mul_f16_e64 v130, v104, v123
	v_fmac_f16_e32 v126, v122, v109
	v_mul_f16_e64 v122, v129, v123
	v_mul_f16_e64 v132, v40, v124
	;; [unrolled: 1-line block ×11, first 2 shown]
	v_fmac_f16_e64 v128, v127, v110
	v_fma_f16 v38, v38, v109, -v119
	v_fma_f16 v39, v39, v110, -v120
	v_fmac_f16_e64 v130, v129, v111
	v_fma_f16 v104, v104, v111, -v122
	v_fmac_f16_e64 v132, v131, v112
	v_fmac_f16_e64 v136, v135, v114
	v_fma_f16 v40, v40, v112, -v123
	v_fma_f16 v35, v105, v113, -v35
	v_fma_f16 v105, v106, v114, -v108
	v_fmac_f16_e64 v134, v133, v113
	v_fmac_f16_e64 v138, v137, v115
	v_fma_f16 v37, v37, v115, -v121
	v_fmac_f16_e64 v140, v139, v116
	v_fma_f16 v106, v107, v116, -v124
	v_pack_b32_f16 v38, v38, v126
	v_pack_b32_f16 v39, v39, v128
	;; [unrolled: 1-line block ×8, first 2 shown]
	ds_store_2addr_b32 v117, v38, v39 offset0:93 offset1:203
	ds_store_2addr_b32 v41, v36, v104 offset0:110 offset1:220
	;; [unrolled: 1-line block ×4, first 2 shown]
	ds_store_b32 v41, v106 offset:4180
	s_and_saveexec_b32 s1, vcc_lo
	s_cbranch_execz .LBB0_13
; %bb.12:
	s_wait_alu 0xfffe
	v_add_co_u32 v35, s2, s2, v41
	s_wait_alu 0xf1ff
	v_add_co_ci_u32_e64 v36, null, s3, 0, s2
	s_clause 0x1
	global_load_b32 v32, v[35:36], off offset:2200
	global_load_b32 v35, v[35:36], off offset:4620
	ds_load_b32 v36, v41 offset:2200
	ds_load_b32 v37, v41 offset:4620
	s_wait_dscnt 0x1
	v_lshrrev_b32_e32 v38, 16, v36
	s_wait_dscnt 0x0
	v_lshrrev_b32_e32 v40, 16, v37
	s_wait_loadcnt 0x1
	v_lshrrev_b32_e32 v39, 16, v32
	s_wait_loadcnt 0x0
	v_lshrrev_b32_e32 v104, 16, v35
	s_delay_alu instid0(VALU_DEP_2) | instskip(SKIP_1) | instid1(VALU_DEP_3)
	v_mul_f16_e32 v105, v38, v39
	v_mul_f16_e32 v39, v36, v39
	;; [unrolled: 1-line block ×4, first 2 shown]
	s_delay_alu instid0(VALU_DEP_4) | instskip(NEXT) | instid1(VALU_DEP_4)
	v_fma_f16 v36, v36, v32, -v105
	v_fmac_f16_e32 v39, v38, v32
	s_delay_alu instid0(VALU_DEP_4) | instskip(NEXT) | instid1(VALU_DEP_4)
	v_fma_f16 v32, v37, v35, -v106
	v_fmac_f16_e32 v104, v40, v35
	s_delay_alu instid0(VALU_DEP_3) | instskip(NEXT) | instid1(VALU_DEP_2)
	v_pack_b32_f16 v35, v36, v39
	v_pack_b32_f16 v32, v32, v104
	ds_store_b32 v41, v35 offset:2200
	ds_store_b32 v41, v32 offset:4620
.LBB0_13:
	s_wait_alu 0xfffe
	s_or_b32 exec_lo, exec_lo, s1
	global_wb scope:SCOPE_SE
	s_wait_dscnt 0x0
	s_barrier_signal -1
	s_barrier_wait -1
	global_inv scope:SCOPE_SE
	ds_load_2addr_b32 v[35:36], v41 offset1:110
	ds_load_2addr_b32 v[31:32], v31 offset0:56 offset1:221
	ds_load_2addr_b32 v[37:38], v34 offset0:75 offset1:185
	;; [unrolled: 1-line block ×4, first 2 shown]
	v_add_nc_u32_e32 v105, 0xa50, v73
	v_add_nc_u32_e32 v104, 0xdc0, v73
	s_and_saveexec_b32 s1, vcc_lo
	s_cbranch_execz .LBB0_15
; %bb.14:
	ds_load_b32 v29, v41 offset:2200
	ds_load_b32 v91, v41 offset:4620
	s_wait_dscnt 0x1
	v_lshrrev_b32_e32 v103, 16, v29
	s_wait_dscnt 0x0
	v_lshrrev_b32_e32 v92, 16, v91
.LBB0_15:
	s_wait_alu 0xfffe
	s_or_b32 exec_lo, exec_lo, s1
	s_wait_dscnt 0x3
	v_pk_add_f16 v107, v35, v32 neg_lo:[0,1] neg_hi:[0,1]
	v_sub_f16_e32 v30, v29, v91
	v_sub_f16_e32 v91, v103, v92
	s_wait_dscnt 0x2
	v_pk_add_f16 v37, v36, v37 neg_lo:[0,1] neg_hi:[0,1]
	s_wait_dscnt 0x1
	v_pk_add_f16 v109, v33, v38 neg_lo:[0,1] neg_hi:[0,1]
	;; [unrolled: 2-line block ×3, first 2 shown]
	v_pk_add_f16 v32, v31, v40 neg_lo:[0,1] neg_hi:[0,1]
	v_fma_f16 v29, v29, 2.0, -v30
	v_fma_f16 v73, v103, 2.0, -v91
	v_pk_fma_f16 v106, v35, 2.0, v107 op_sel_hi:[1,0,1] neg_lo:[0,0,1] neg_hi:[0,0,1]
	v_pk_fma_f16 v36, v36, 2.0, v37 op_sel_hi:[1,0,1] neg_lo:[0,0,1] neg_hi:[0,0,1]
	;; [unrolled: 1-line block ×5, first 2 shown]
	global_wb scope:SCOPE_SE
	s_barrier_signal -1
	s_barrier_wait -1
	global_inv scope:SCOPE_SE
	ds_store_b64 v65, v[106:107]
	ds_store_b64 v66, v[36:37]
	;; [unrolled: 1-line block ×5, first 2 shown]
	s_and_saveexec_b32 s1, vcc_lo
	s_cbranch_execz .LBB0_17
; %bb.16:
	v_perm_b32 v32, v91, v30, 0x5040100
	v_perm_b32 v31, v73, v29, 0x5040100
	ds_store_b64 v67, v[31:32]
.LBB0_17:
	s_wait_alu 0xfffe
	s_or_b32 exec_lo, exec_lo, s1
	v_add_nc_u32_e32 v33, 0x200, v41
	v_add_nc_u32_e32 v34, 0x600, v41
	;; [unrolled: 1-line block ×4, first 2 shown]
	global_wb scope:SCOPE_SE
	s_wait_dscnt 0x0
	s_barrier_signal -1
	s_barrier_wait -1
	global_inv scope:SCOPE_SE
	ds_load_2addr_b32 v[31:32], v41 offset1:110
	ds_load_2addr_b32 v[39:40], v33 offset0:114 offset1:224
	ds_load_2addr_b32 v[37:38], v34 offset0:100 offset1:210
	;; [unrolled: 1-line block ×4, first 2 shown]
	s_and_saveexec_b32 s1, s0
	s_cbranch_execz .LBB0_19
; %bb.18:
	v_add_nc_u32_e32 v25, 0x340, v41
	v_add_nc_u32_e32 v26, 0xb00, v41
	ds_load_2addr_b32 v[29:30], v25 offset0:12 offset1:254
	ds_load_2addr_b32 v[25:26], v26 offset1:242
	ds_load_b32 v76, v41 offset:4752
	s_wait_dscnt 0x2
	v_lshrrev_b32_e32 v73, 16, v29
	v_lshrrev_b32_e32 v91, 16, v30
	s_wait_dscnt 0x1
	v_lshrrev_b32_e32 v79, 16, v25
	v_lshrrev_b32_e32 v78, 16, v26
	s_wait_dscnt 0x0
	v_lshrrev_b32_e32 v77, 16, v76
.LBB0_19:
	s_wait_alu 0xfffe
	s_or_b32 exec_lo, exec_lo, s1
	s_wait_dscnt 0x3
	v_lshrrev_b32_e32 v66, 16, v39
	s_wait_dscnt 0x2
	v_lshrrev_b32_e32 v67, 16, v37
	;; [unrolled: 2-line block ×4, first 2 shown]
	v_mul_f16_e32 v106, v69, v39
	v_mul_f16_e32 v105, v69, v66
	v_lshrrev_b32_e32 v104, 16, v40
	v_mul_f16_e32 v110, v71, v68
	v_mul_f16_e32 v111, v71, v35
	;; [unrolled: 1-line block ×3, first 2 shown]
	v_fmac_f16_e32 v105, v0, v39
	v_fma_f16 v39, v0, v66, -v106
	v_mul_f16_e32 v66, v72, v67
	v_mul_f16_e32 v106, v72, v37
	v_lshrrev_b32_e32 v107, 16, v38
	v_fmac_f16_e32 v110, v2, v35
	v_fma_f16 v35, v2, v68, -v111
	v_fmac_f16_e32 v66, v1, v37
	v_fma_f16 v37, v1, v67, -v106
	v_fmac_f16_e32 v112, v3, v33
	v_mul_f16_e32 v33, v70, v33
	v_mul_f16_e32 v67, v69, v104
	;; [unrolled: 1-line block ×3, first 2 shown]
	v_lshrrev_b32_e32 v108, 16, v36
	v_lshrrev_b32_e32 v109, 16, v34
	v_mul_f16_e32 v106, v72, v107
	v_mul_f16_e32 v111, v72, v38
	v_fma_f16 v33, v3, v92, -v33
	v_fmac_f16_e32 v67, v0, v40
	v_fma_f16 v40, v0, v104, -v68
	v_add_f16_e32 v68, v66, v110
	v_lshrrev_b32_e32 v65, 16, v31
	v_fmac_f16_e32 v106, v1, v38
	v_fma_f16 v38, v1, v107, -v111
	v_mul_f16_e32 v92, v71, v108
	v_mul_f16_e32 v104, v71, v36
	;; [unrolled: 1-line block ×3, first 2 shown]
	v_add_f16_e32 v111, v31, v105
	v_fma_f16 v68, -0.5, v68, v31
	v_sub_f16_e32 v113, v39, v33
	v_add_f16_e32 v116, v105, v112
	v_fmac_f16_e32 v92, v2, v36
	v_fma_f16 v36, v2, v108, -v104
	v_fmac_f16_e32 v107, v3, v34
	v_add_f16_e32 v104, v111, v66
	v_fmamk_f16 v108, v113, 0xbb9c, v68
	v_sub_f16_e32 v111, v37, v35
	v_sub_f16_e32 v114, v105, v66
	v_sub_f16_e32 v115, v112, v110
	v_mul_f16_e32 v34, v70, v34
	v_fma_f16 v31, -0.5, v116, v31
	v_fmac_f16_e32 v68, 0x3b9c, v113
	v_add_f16_e32 v117, v65, v39
	v_fmac_f16_e32 v108, 0xb8b4, v111
	v_add_f16_e32 v114, v114, v115
	v_fma_f16 v34, v3, v109, -v34
	v_fmamk_f16 v109, v111, 0x3b9c, v31
	v_sub_f16_e32 v115, v66, v105
	v_sub_f16_e32 v116, v110, v112
	v_fmac_f16_e32 v68, 0x38b4, v111
	v_add_f16_e32 v118, v37, v35
	v_fmac_f16_e32 v31, 0xbb9c, v111
	v_add_f16_e32 v111, v117, v37
	v_add_f16_e32 v104, v104, v110
	v_fmac_f16_e32 v109, 0xb8b4, v113
	v_add_f16_e32 v115, v115, v116
	v_fma_f16 v116, -0.5, v118, v65
	v_sub_f16_e32 v105, v105, v112
	v_fmac_f16_e32 v31, 0x38b4, v113
	v_add_f16_e32 v111, v111, v35
	v_add_f16_e32 v113, v39, v33
	;; [unrolled: 1-line block ×3, first 2 shown]
	v_fmac_f16_e32 v108, 0x34f2, v114
	v_fmac_f16_e32 v68, 0x34f2, v114
	v_fmamk_f16 v112, v105, 0x3b9c, v116
	v_sub_f16_e32 v66, v66, v110
	v_sub_f16_e32 v110, v39, v37
	;; [unrolled: 1-line block ×3, first 2 shown]
	v_fmac_f16_e32 v65, -0.5, v113
	v_add_f16_e32 v111, v111, v33
	v_fmac_f16_e32 v116, 0xbb9c, v105
	v_sub_f16_e32 v37, v37, v39
	v_sub_f16_e32 v33, v35, v33
	v_add_f16_e32 v35, v106, v92
	v_fmac_f16_e32 v112, 0x38b4, v66
	v_add_f16_e32 v110, v110, v114
	v_fmamk_f16 v113, v66, 0xbb9c, v65
	v_fmac_f16_e32 v116, 0xb8b4, v66
	v_add_f16_e32 v33, v37, v33
	v_fmac_f16_e32 v65, 0x3b9c, v66
	v_add_f16_e32 v37, v32, v67
	v_fma_f16 v35, -0.5, v35, v32
	v_sub_f16_e32 v39, v40, v34
	v_fmac_f16_e32 v109, 0x34f2, v115
	v_fmac_f16_e32 v31, 0x34f2, v115
	;; [unrolled: 1-line block ×6, first 2 shown]
	v_add_f16_e32 v37, v37, v106
	v_fmamk_f16 v66, v39, 0xbb9c, v35
	v_sub_f16_e32 v105, v38, v36
	v_sub_f16_e32 v110, v67, v106
	;; [unrolled: 1-line block ×3, first 2 shown]
	v_fmac_f16_e32 v35, 0x3b9c, v39
	v_add_f16_e32 v115, v67, v107
	v_lshrrev_b32_e32 v103, 16, v32
	v_add_f16_e32 v37, v37, v92
	v_fmac_f16_e32 v66, 0xb8b4, v105
	v_add_f16_e32 v110, v110, v114
	v_fmac_f16_e32 v35, 0x38b4, v105
	v_fmac_f16_e32 v32, -0.5, v115
	v_sub_f16_e32 v114, v106, v67
	v_sub_f16_e32 v115, v92, v107
	v_fmac_f16_e32 v113, 0x34f2, v33
	v_fmac_f16_e32 v65, 0x34f2, v33
	v_add_f16_e32 v33, v37, v107
	v_fmac_f16_e32 v66, 0x34f2, v110
	v_fmac_f16_e32 v35, 0x34f2, v110
	v_fmamk_f16 v37, v105, 0x3b9c, v32
	v_add_f16_e32 v110, v38, v36
	v_fmac_f16_e32 v32, 0xbb9c, v105
	v_add_f16_e32 v105, v103, v40
	v_sub_f16_e32 v67, v67, v107
	v_add_f16_e32 v107, v114, v115
	v_add_f16_e32 v114, v40, v34
	v_fma_f16 v110, -0.5, v110, v103
	v_fmac_f16_e32 v37, 0xb8b4, v39
	v_fmac_f16_e32 v32, 0x38b4, v39
	v_add_f16_e32 v39, v105, v38
	v_sub_f16_e32 v92, v106, v92
	v_fmac_f16_e32 v103, -0.5, v114
	v_fmac_f16_e32 v37, 0x34f2, v107
	v_fmac_f16_e32 v32, 0x34f2, v107
	v_add_f16_e32 v39, v39, v36
	v_sub_f16_e32 v106, v40, v38
	v_sub_f16_e32 v107, v34, v36
	v_fmamk_f16 v114, v92, 0xbb9c, v103
	v_sub_f16_e32 v38, v38, v40
	v_sub_f16_e32 v36, v36, v34
	v_fmac_f16_e32 v103, 0x3b9c, v92
	v_fmamk_f16 v105, v67, 0x3b9c, v110
	v_fmac_f16_e32 v110, 0xbb9c, v67
	v_fmac_f16_e32 v114, 0x38b4, v67
	v_add_f16_e32 v36, v38, v36
	v_fmac_f16_e32 v103, 0xb8b4, v67
	v_fmac_f16_e32 v105, 0x38b4, v92
	v_add_f16_e32 v40, v106, v107
	v_fmac_f16_e32 v110, 0xb8b4, v92
	v_fmac_f16_e32 v114, 0x34f2, v36
	;; [unrolled: 1-line block ×3, first 2 shown]
	v_pack_b32_f16 v36, v104, v111
	v_pack_b32_f16 v38, v108, v112
	v_add_f16_e32 v34, v39, v34
	v_fmac_f16_e32 v105, 0x34f2, v40
	v_fmac_f16_e32 v110, 0x34f2, v40
	global_wb scope:SCOPE_SE
	s_barrier_signal -1
	s_barrier_wait -1
	global_inv scope:SCOPE_SE
	ds_store_2addr_b32 v75, v36, v38 offset1:2
	v_pack_b32_f16 v36, v109, v113
	v_pack_b32_f16 v31, v31, v65
	;; [unrolled: 1-line block ×8, first 2 shown]
	ds_store_2addr_b32 v75, v36, v31 offset0:4 offset1:6
	ds_store_b32 v75, v38 offset:32
	ds_store_2addr_b32 v74, v33, v34 offset1:2
	ds_store_2addr_b32 v74, v37, v32 offset0:4 offset1:6
	ds_store_b32 v74, v35 offset:32
	s_and_saveexec_b32 s1, s0
	s_cbranch_execz .LBB0_21
; %bb.20:
	v_mul_f16_e32 v31, v69, v30
	v_mul_f16_e32 v32, v72, v25
	;; [unrolled: 1-line block ×8, first 2 shown]
	v_fma_f16 v31, v0, v91, -v31
	v_fma_f16 v32, v1, v79, -v32
	v_fma_f16 v34, v2, v78, -v34
	v_fmac_f16_e32 v35, v1, v25
	v_fmac_f16_e32 v36, v2, v26
	;; [unrolled: 1-line block ×4, first 2 shown]
	v_fma_f16 v1, v3, v77, -v33
	v_sub_f16_e32 v3, v31, v32
	v_add_f16_e32 v0, v32, v34
	v_sub_f16_e32 v40, v37, v35
	v_sub_f16_e32 v65, v38, v36
	;; [unrolled: 1-line block ×4, first 2 shown]
	v_fma_f16 v0, -0.5, v0, v73
	v_sub_f16_e32 v33, v35, v36
	v_add_f16_e32 v40, v65, v40
	v_add_f16_e32 v3, v26, v3
	;; [unrolled: 1-line block ×4, first 2 shown]
	v_sub_f16_e32 v67, v32, v34
	v_add_f16_e32 v68, v29, v37
	v_sub_f16_e32 v31, v32, v31
	v_add_f16_e32 v26, v32, v26
	v_fmac_f16_e32 v73, -0.5, v65
	v_sub_f16_e32 v32, v34, v1
	v_add_f16_e32 v2, v35, v36
	v_sub_f16_e32 v25, v37, v38
	v_add_f16_e32 v26, v34, v26
	v_add_f16_e32 v65, v35, v68
	v_fmamk_f16 v34, v33, 0x3b9c, v73
	v_fmac_f16_e32 v73, 0xbb9c, v33
	v_add_f16_e32 v31, v32, v31
	v_add_f16_e32 v32, v38, v37
	v_fma_f16 v2, -0.5, v2, v29
	v_add_f16_e32 v1, v1, v26
	v_add_f16_e32 v26, v36, v65
	v_fmac_f16_e32 v34, 0xb8b4, v25
	v_fmac_f16_e32 v73, 0x38b4, v25
	v_fmac_f16_e32 v29, -0.5, v32
	v_fmamk_f16 v39, v25, 0x3b9c, v0
	v_fmamk_f16 v66, v30, 0xbb9c, v2
	v_fmac_f16_e32 v0, 0xbb9c, v25
	v_add_f16_e32 v25, v38, v26
	v_fmac_f16_e32 v34, 0x34f2, v31
	v_fmac_f16_e32 v73, 0x34f2, v31
	v_sub_f16_e32 v26, v35, v37
	v_sub_f16_e32 v31, v36, v38
	v_fmamk_f16 v32, v67, 0xbb9c, v29
	v_fmac_f16_e32 v29, 0x3b9c, v67
	v_fmac_f16_e32 v2, 0x3b9c, v30
	;; [unrolled: 1-line block ×5, first 2 shown]
	v_mul_u32_u24_e32 v33, 10, v64
	v_add_f16_e32 v26, v31, v26
	v_fmac_f16_e32 v32, 0x38b4, v30
	v_fmac_f16_e32 v29, 0xb8b4, v30
	;; [unrolled: 1-line block ×5, first 2 shown]
	v_or_b32_e32 v30, v33, v63
	v_fmac_f16_e32 v32, 0x34f2, v26
	v_fmac_f16_e32 v29, 0x34f2, v26
	;; [unrolled: 1-line block ×4, first 2 shown]
	v_lshlrev_b32_e32 v3, 2, v30
	v_pack_b32_f16 v1, v25, v1
	v_pack_b32_f16 v25, v66, v39
	;; [unrolled: 1-line block ×5, first 2 shown]
	ds_store_2addr_b32 v3, v1, v25 offset1:2
	ds_store_2addr_b32 v3, v26, v29 offset0:4 offset1:6
	ds_store_b32 v3, v0 offset:32
.LBB0_21:
	s_wait_alu 0xfffe
	s_or_b32 exec_lo, exec_lo, s1
	v_add_nc_u32_e32 v2, 0x200, v41
	global_wb scope:SCOPE_SE
	s_wait_dscnt 0x0
	s_barrier_signal -1
	s_barrier_wait -1
	global_inv scope:SCOPE_SE
	ds_load_2addr_b32 v[25:26], v41 offset1:110
	ds_load_2addr_b32 v[29:30], v2 offset0:92 offset1:202
	v_add_nc_u32_e32 v0, 0x600, v41
	v_add_nc_u32_e32 v3, 0xa00, v41
	;; [unrolled: 1-line block ×3, first 2 shown]
	ds_load_b32 v37, v41 offset:4400
	ds_load_2addr_b32 v[31:32], v0 offset0:56 offset1:166
	ds_load_2addr_b32 v[33:34], v3 offset0:20 offset1:130
	;; [unrolled: 1-line block ×3, first 2 shown]
	global_wb scope:SCOPE_SE
	s_wait_dscnt 0x0
	s_barrier_signal -1
	s_barrier_wait -1
	global_inv scope:SCOPE_SE
	s_mov_b32 s10, 0xdfd760e6
	s_mov_b32 s11, 0x3f4b14bb
	v_lshrrev_b32_e32 v39, 16, v26
	v_mul_f16_e32 v63, v102, v26
	v_lshrrev_b32_e32 v64, 16, v29
	v_lshrrev_b32_e32 v38, 16, v25
	;; [unrolled: 1-line block ×5, first 2 shown]
	v_mul_f16_e32 v72, v102, v39
	v_fma_f16 v39, v8, v39, -v63
	v_mul_f16_e32 v63, v101, v29
	v_mul_f16_e32 v74, v101, v64
	v_lshrrev_b32_e32 v68, 16, v33
	v_fmac_f16_e32 v72, v8, v26
	v_mul_f16_e32 v73, v100, v30
	v_fma_f16 v26, v9, v64, -v63
	v_mul_f16_e32 v63, v99, v66
	v_fmac_f16_e32 v74, v9, v29
	v_mul_f16_e32 v9, v99, v31
	v_mul_f16_e32 v29, v98, v67
	;; [unrolled: 1-line block ×3, first 2 shown]
	v_fmac_f16_e32 v63, v11, v31
	v_add_f16_e32 v31, v25, v72
	v_fma_f16 v9, v11, v66, -v9
	v_mul_f16_e32 v11, v98, v32
	v_fmac_f16_e32 v29, v4, v32
	v_add_f16_e32 v32, v38, v39
	v_fmac_f16_e32 v8, v10, v30
	v_fma_f16 v10, v10, v65, -v73
	v_mul_f16_e32 v30, v97, v68
	v_fma_f16 v4, v4, v67, -v11
	v_mul_f16_e32 v11, v97, v33
	v_add_f16_e32 v31, v31, v74
	v_add_f16_e32 v32, v32, v26
	v_fmac_f16_e32 v30, v5, v33
	v_lshrrev_b32_e32 v69, 16, v34
	v_fma_f16 v5, v5, v68, -v11
	v_add_f16_e32 v11, v31, v8
	v_add_f16_e32 v31, v32, v10
	v_lshrrev_b32_e32 v70, 16, v35
	v_lshrrev_b32_e32 v71, 16, v36
	v_mul_f16_e32 v33, v96, v69
	v_mul_f16_e32 v64, v96, v34
	v_add_f16_e32 v31, v31, v9
	v_mul_f16_e32 v32, v95, v70
	v_add_f16_e32 v11, v11, v63
	v_fmac_f16_e32 v33, v6, v34
	v_fma_f16 v6, v6, v69, -v64
	v_add_f16_e32 v31, v31, v4
	v_mul_f16_e32 v34, v95, v35
	v_mul_f16_e32 v64, v93, v71
	v_lshrrev_b32_e32 v40, 16, v37
	v_fmac_f16_e32 v32, v7, v35
	v_add_f16_e32 v31, v31, v5
	v_add_f16_e32 v11, v11, v29
	v_fma_f16 v7, v7, v70, -v34
	v_fmac_f16_e32 v64, v23, v36
	v_mul_f16_e32 v34, v94, v37
	v_mul_f16_e32 v36, v93, v36
	v_add_f16_e32 v31, v31, v6
	v_add_f16_e32 v11, v11, v30
	v_mul_f16_e32 v35, v94, v40
	v_fma_f16 v34, v24, v40, -v34
	v_fma_f16 v23, v23, v71, -v36
	v_add_f16_e32 v31, v31, v7
	v_add_f16_e32 v11, v11, v33
	v_fmac_f16_e32 v35, v24, v37
	v_sub_f16_e32 v24, v39, v34
	v_add_f16_e32 v37, v39, v34
	v_add_f16_e32 v31, v31, v23
	;; [unrolled: 1-line block ×4, first 2 shown]
	v_mul_f16_e32 v39, 0xb853, v24
	v_sub_f16_e32 v40, v72, v35
	v_mul_f16_e32 v65, 0x3abb, v37
	v_add_f16_e32 v31, v31, v34
	v_mul_f16_e32 v34, 0xbb47, v24
	v_mul_f16_e32 v68, 0x36a6, v37
	;; [unrolled: 1-line block ×8, first 2 shown]
	v_sub_f16_e32 v91, v26, v23
	v_add_f16_e32 v11, v11, v64
	v_fmamk_f16 v66, v36, 0x3abb, v39
	v_fma_f16 v39, v36, 0x3abb, -v39
	v_fmamk_f16 v67, v36, 0x36a6, v34
	v_fma_f16 v34, v36, 0x36a6, -v34
	;; [unrolled: 2-line block ×4, first 2 shown]
	v_fmamk_f16 v79, v36, 0xbbad, v24
	v_fmamk_f16 v92, v40, 0x3482, v37
	v_fma_f16 v24, v36, 0xbbad, -v24
	v_add_f16_e32 v23, v26, v23
	v_add_f16_e32 v26, v74, v64
	v_mul_f16_e32 v36, 0xbb47, v91
	v_add_f16_e32 v11, v11, v35
	v_fmamk_f16 v35, v40, 0x3853, v65
	v_add_f16_e32 v66, v25, v66
	v_fmac_f16_e32 v65, 0xb853, v40
	v_fmamk_f16 v70, v40, 0x3b47, v68
	v_fmac_f16_e32 v68, 0xbb47, v40
	v_fmamk_f16 v73, v40, 0x3beb, v71
	;; [unrolled: 2-line block ×3, first 2 shown]
	v_fmac_f16_e32 v76, 0xba0c, v40
	v_fmac_f16_e32 v37, 0xb482, v40
	v_sub_f16_e32 v40, v74, v64
	v_mul_f16_e32 v64, 0x36a6, v23
	v_add_f16_e32 v74, v38, v92
	v_fmamk_f16 v92, v26, 0x36a6, v36
	v_add_f16_e32 v35, v38, v35
	v_add_f16_e32 v39, v25, v39
	;; [unrolled: 1-line block ×18, first 2 shown]
	v_fmamk_f16 v37, v40, 0x3b47, v64
	v_mul_f16_e32 v38, 0xba0c, v91
	v_add_f16_e32 v66, v92, v66
	v_fma_f16 v36, v26, 0x36a6, -v36
	v_fmac_f16_e32 v64, 0xbb47, v40
	v_mul_f16_e32 v92, 0xb93d, v23
	v_add_f16_e32 v35, v37, v35
	v_fmamk_f16 v37, v26, 0xb93d, v38
	v_add_f16_e32 v36, v36, v39
	v_add_f16_e32 v39, v64, v65
	v_mul_f16_e32 v64, 0x3482, v91
	v_fmamk_f16 v65, v40, 0x3a0c, v92
	v_fma_f16 v38, v26, 0xb93d, -v38
	v_fmac_f16_e32 v92, 0xba0c, v40
	v_mul_f16_e32 v93, 0xbbad, v23
	v_add_f16_e32 v37, v37, v67
	v_fmamk_f16 v67, v26, 0xbbad, v64
	v_add_f16_e32 v65, v65, v70
	v_add_f16_e32 v34, v38, v34
	;; [unrolled: 1-line block ×3, first 2 shown]
	v_fmamk_f16 v68, v40, 0xb482, v93
	v_mul_f16_e32 v70, 0x3beb, v91
	v_add_f16_e32 v67, v67, v72
	v_fma_f16 v64, v26, 0xbbad, -v64
	v_mul_f16_e32 v72, 0xb08e, v23
	v_add_f16_e32 v68, v68, v73
	v_fmamk_f16 v73, v26, 0xb08e, v70
	v_mul_f16_e32 v91, 0x3853, v91
	v_fma_f16 v70, v26, 0xb08e, -v70
	v_add_f16_e32 v64, v64, v69
	v_fmamk_f16 v69, v40, 0xbbeb, v72
	v_add_f16_e32 v73, v73, v77
	v_fmac_f16_e32 v72, 0x3beb, v40
	v_fmamk_f16 v77, v26, 0x3abb, v91
	v_add_f16_e32 v70, v70, v75
	v_sub_f16_e32 v75, v10, v7
	v_add_f16_e32 v69, v69, v78
	v_mul_f16_e32 v23, 0x3abb, v23
	v_add_f16_e32 v72, v72, v76
	v_add_f16_e32 v76, v77, v79
	;; [unrolled: 1-line block ×3, first 2 shown]
	v_mul_f16_e32 v79, 0xbbeb, v75
	v_add_f16_e32 v7, v10, v7
	v_fmamk_f16 v77, v40, 0xb853, v23
	v_fma_f16 v10, v26, 0x3abb, -v91
	v_fmac_f16_e32 v23, 0x3853, v40
	v_sub_f16_e32 v8, v8, v32
	v_fmamk_f16 v26, v78, 0xb08e, v79
	v_mul_f16_e32 v32, 0xb08e, v7
	v_fmac_f16_e32 v93, 0x3482, v40
	v_add_f16_e32 v40, v77, v74
	v_add_f16_e32 v10, v10, v24
	;; [unrolled: 1-line block ×4, first 2 shown]
	v_fmamk_f16 v25, v8, 0x3beb, v32
	v_mul_f16_e32 v26, 0x3482, v75
	v_fma_f16 v66, v78, 0xb08e, -v79
	v_fmac_f16_e32 v32, 0xbbeb, v8
	v_mul_f16_e32 v74, 0xbbad, v7
	v_add_f16_e32 v25, v25, v35
	v_fmamk_f16 v35, v78, 0xbbad, v26
	v_add_f16_e32 v36, v66, v36
	v_add_f16_e32 v32, v32, v39
	v_fmamk_f16 v39, v8, 0xb482, v74
	v_mul_f16_e32 v66, 0x3b47, v75
	v_add_f16_e32 v35, v35, v37
	v_fma_f16 v26, v78, 0xbbad, -v26
	v_fmac_f16_e32 v74, 0x3482, v8
	v_add_f16_e32 v37, v39, v65
	v_fmamk_f16 v39, v78, 0x36a6, v66
	v_mul_f16_e32 v65, 0x36a6, v7
	v_add_f16_e32 v26, v26, v34
	v_add_f16_e32 v34, v74, v38
	v_mul_f16_e32 v38, 0xb853, v75
	v_add_f16_e32 v39, v39, v67
	v_fmamk_f16 v67, v8, 0xbb47, v65
	v_mul_f16_e32 v77, 0x3abb, v7
	v_add_f16_e32 v71, v93, v71
	v_fma_f16 v66, v78, 0x36a6, -v66
	v_fmac_f16_e32 v65, 0x3b47, v8
	v_fmamk_f16 v74, v78, 0x3abb, v38
	v_add_f16_e32 v67, v67, v68
	v_fmamk_f16 v68, v8, 0x3853, v77
	v_mul_f16_e32 v7, 0xb93d, v7
	v_fma_f16 v38, v78, 0x3abb, -v38
	v_fmac_f16_e32 v77, 0xb853, v8
	v_add_f16_e32 v64, v66, v64
	v_add_f16_e32 v65, v65, v71
	;; [unrolled: 1-line block ×3, first 2 shown]
	v_mul_f16_e32 v71, 0xba0c, v75
	v_fmamk_f16 v73, v8, 0x3a0c, v7
	v_add_f16_e32 v38, v38, v70
	v_add_f16_e32 v70, v77, v72
	v_sub_f16_e32 v72, v9, v6
	v_add_f16_e32 v6, v9, v6
	v_add_f16_e32 v68, v68, v69
	v_fmamk_f16 v69, v78, 0xb93d, v71
	v_add_f16_e32 v40, v73, v40
	v_add_f16_e32 v73, v63, v33
	v_mul_f16_e32 v9, 0xba0c, v72
	v_fma_f16 v71, v78, 0xb93d, -v71
	v_fmac_f16_e32 v7, 0xba0c, v8
	v_sub_f16_e32 v8, v63, v33
	v_mul_f16_e32 v33, 0xb93d, v6
	v_fmamk_f16 v63, v73, 0xb93d, v9
	v_add_f16_e32 v10, v71, v10
	v_add_f16_e32 v7, v7, v23
	v_mul_f16_e32 v23, 0x3beb, v72
	v_fmamk_f16 v71, v8, 0x3a0c, v33
	v_add_f16_e32 v24, v63, v24
	v_fma_f16 v9, v73, 0xb93d, -v9
	v_fmac_f16_e32 v33, 0xba0c, v8
	v_fmamk_f16 v63, v73, 0xb08e, v23
	v_add_f16_e32 v25, v71, v25
	v_mul_f16_e32 v71, 0xb08e, v6
	v_add_f16_e32 v9, v9, v36
	v_add_f16_e32 v32, v33, v32
	;; [unrolled: 1-line block ×3, first 2 shown]
	v_mul_f16_e32 v35, 0xb853, v72
	v_fmamk_f16 v36, v8, 0xbbeb, v71
	v_fma_f16 v23, v73, 0xb08e, -v23
	v_fmac_f16_e32 v71, 0x3beb, v8
	v_mul_f16_e32 v63, 0x3abb, v6
	v_fmamk_f16 v74, v73, 0x3abb, v35
	v_add_f16_e32 v36, v36, v37
	v_add_f16_e32 v23, v23, v26
	;; [unrolled: 1-line block ×3, first 2 shown]
	v_fmamk_f16 v34, v8, 0x3853, v63
	v_add_f16_e32 v37, v74, v39
	v_mul_f16_e32 v39, 0xb482, v72
	v_fma_f16 v35, v73, 0x3abb, -v35
	v_fmac_f16_e32 v63, 0xb853, v8
	v_add_f16_e32 v34, v34, v67
	v_mul_f16_e32 v67, 0xbbad, v6
	v_fmamk_f16 v71, v73, 0xbbad, v39
	v_add_f16_e32 v35, v35, v64
	v_add_f16_e32 v63, v63, v65
	v_mul_f16_e32 v64, 0x3b47, v72
	v_fmamk_f16 v65, v8, 0x3482, v67
	v_add_f16_e32 v69, v69, v76
	v_add_f16_e32 v66, v71, v66
	v_fma_f16 v39, v73, 0xbbad, -v39
	v_fmac_f16_e32 v67, 0xb482, v8
	v_fmamk_f16 v71, v73, 0x36a6, v64
	v_add_f16_e32 v65, v65, v68
	v_mul_f16_e32 v6, 0x36a6, v6
	v_sub_f16_e32 v68, v4, v5
	v_add_f16_e32 v4, v4, v5
	v_add_f16_e32 v38, v39, v38
	;; [unrolled: 1-line block ×4, first 2 shown]
	v_fmamk_f16 v69, v8, 0xbb47, v6
	v_fma_f16 v64, v73, 0x36a6, -v64
	v_add_f16_e32 v5, v29, v30
	v_mul_f16_e32 v70, 0xb482, v68
	v_fmac_f16_e32 v6, 0x3b47, v8
	v_sub_f16_e32 v8, v29, v30
	v_mul_f16_e32 v29, 0xbbad, v4
	v_add_f16_e32 v30, v69, v40
	v_fmamk_f16 v40, v5, 0xbbad, v70
	v_add_f16_e32 v10, v64, v10
	v_add_f16_e32 v6, v6, v7
	v_fmamk_f16 v7, v8, 0x3482, v29
	v_mul_f16_e32 v64, 0x3853, v68
	v_fmac_f16_e32 v29, 0xb482, v8
	v_add_f16_e32 v24, v40, v24
	v_fma_f16 v40, v5, 0xbbad, -v70
	v_add_f16_e32 v7, v7, v25
	v_fmamk_f16 v25, v5, 0x3abb, v64
	v_mul_f16_e32 v69, 0x3abb, v4
	v_add_f16_e32 v29, v29, v32
	v_mul_f16_e32 v32, 0xba0c, v68
	v_add_f16_e32 v9, v40, v9
	v_add_f16_e32 v25, v25, v33
	v_fmamk_f16 v33, v8, 0xb853, v69
	v_fma_f16 v40, v5, 0x3abb, -v64
	v_fmamk_f16 v64, v5, 0xb93d, v32
	v_mul_f16_e32 v70, 0xb93d, v4
	v_fma_f16 v32, v5, 0xb93d, -v32
	v_add_f16_e32 v33, v33, v36
	v_add_f16_e32 v23, v40, v23
	;; [unrolled: 1-line block ×3, first 2 shown]
	v_fmamk_f16 v37, v8, 0x3a0c, v70
	v_mul_f16_e32 v40, 0x3b47, v68
	v_fmac_f16_e32 v70, 0xba0c, v8
	v_mul_f16_e32 v64, 0x36a6, v4
	v_add_f16_e32 v32, v32, v35
	v_add_f16_e32 v34, v37, v34
	v_fmamk_f16 v37, v5, 0x36a6, v40
	v_add_f16_e32 v35, v70, v63
	v_fmamk_f16 v63, v8, 0xbb47, v64
	v_mul_f16_e32 v4, 0xb08e, v4
	v_fma_f16 v40, v5, 0x36a6, -v40
	v_add_f16_e32 v37, v37, v66
	v_mul_f16_e32 v66, 0xbbeb, v68
	v_add_f16_e32 v63, v63, v65
	v_fmamk_f16 v65, v8, 0x3beb, v4
	v_fmac_f16_e32 v4, 0xbbeb, v8
	v_add_f16_e32 v38, v40, v38
	v_fmac_f16_e32 v64, 0x3b47, v8
	v_fmamk_f16 v40, v5, 0xb08e, v66
	v_fma_f16 v5, v5, 0xb08e, -v66
	v_fmac_f16_e32 v69, 0x3853, v8
	v_add_f16_e32 v4, v4, v6
	v_pack_b32_f16 v6, v11, v31
	v_pack_b32_f16 v7, v24, v7
	v_add_f16_e32 v8, v64, v39
	v_add_f16_e32 v39, v40, v67
	;; [unrolled: 1-line block ×5, first 2 shown]
	ds_store_2addr_b32 v80, v6, v7 offset1:10
	v_pack_b32_f16 v6, v25, v33
	v_pack_b32_f16 v7, v36, v34
	;; [unrolled: 1-line block ×9, first 2 shown]
	ds_store_2addr_b32 v80, v6, v7 offset0:20 offset1:30
	ds_store_2addr_b32 v80, v10, v11 offset0:40 offset1:50
	;; [unrolled: 1-line block ×4, first 2 shown]
	ds_store_b32 v80, v9 offset:400
	global_wb scope:SCOPE_SE
	s_wait_dscnt 0x0
	s_barrier_signal -1
	s_barrier_wait -1
	global_inv scope:SCOPE_SE
	ds_load_2addr_b32 v[4:5], v41 offset1:110
	ds_load_2addr_b32 v[6:7], v2 offset0:92 offset1:202
	ds_load_2addr_b32 v[8:9], v0 offset0:56 offset1:166
	;; [unrolled: 1-line block ×4, first 2 shown]
	ds_load_b32 v25, v41 offset:4400
	s_wait_dscnt 0x5
	v_lshrrev_b32_e32 v29, 16, v5
	s_wait_dscnt 0x4
	v_lshrrev_b32_e32 v30, 16, v6
	v_lshrrev_b32_e32 v31, 16, v7
	s_wait_dscnt 0x3
	v_lshrrev_b32_e32 v32, 16, v8
	v_mul_f16_e32 v38, v90, v5
	v_mul_f16_e32 v37, v90, v29
	;; [unrolled: 1-line block ×3, first 2 shown]
	v_lshrrev_b32_e32 v33, 16, v9
	v_lshrrev_b32_e32 v26, 16, v4
	s_wait_dscnt 0x2
	v_lshrrev_b32_e32 v34, 16, v10
	v_fmac_f16_e32 v37, v16, v5
	v_fma_f16 v5, v16, v29, -v38
	v_mul_f16_e32 v16, v89, v6
	v_fmac_f16_e32 v40, v17, v6
	v_mul_f16_e32 v6, v88, v31
	v_mul_f16_e32 v29, v88, v7
	;; [unrolled: 1-line block ×3, first 2 shown]
	v_fma_f16 v16, v17, v30, -v16
	v_mul_f16_e32 v17, v87, v8
	v_fmac_f16_e32 v6, v18, v7
	v_fma_f16 v7, v18, v31, -v29
	v_fmac_f16_e32 v38, v19, v8
	v_mul_f16_e32 v8, v86, v33
	v_add_f16_e32 v18, v4, v37
	v_fma_f16 v17, v19, v32, -v17
	v_mul_f16_e32 v19, v86, v9
	v_mul_f16_e32 v29, v85, v34
	v_fmac_f16_e32 v8, v12, v9
	v_add_f16_e32 v9, v26, v5
	v_add_f16_e32 v18, v18, v40
	v_lshrrev_b32_e32 v35, 16, v11
	v_fmac_f16_e32 v29, v13, v10
	v_mul_f16_e32 v10, v85, v10
	v_add_f16_e32 v9, v9, v16
	v_add_f16_e32 v18, v18, v6
	s_wait_dscnt 0x1
	v_lshrrev_b32_e32 v36, 16, v23
	v_fma_f16 v12, v12, v33, -v19
	v_mul_f16_e32 v19, v84, v35
	v_mul_f16_e32 v30, v84, v11
	v_fma_f16 v10, v13, v34, -v10
	v_add_f16_e32 v9, v9, v7
	v_add_f16_e32 v13, v18, v38
	v_lshrrev_b32_e32 v39, 16, v24
	v_fmac_f16_e32 v19, v14, v11
	v_fma_f16 v11, v14, v35, -v30
	v_mul_f16_e32 v14, v83, v36
	v_add_f16_e32 v9, v9, v17
	v_add_f16_e32 v13, v13, v8
	v_mul_f16_e32 v18, v83, v23
	s_wait_dscnt 0x0
	v_lshrrev_b32_e32 v63, 16, v25
	v_mul_f16_e32 v30, v81, v39
	v_fmac_f16_e32 v14, v15, v23
	v_add_f16_e32 v9, v9, v12
	v_add_f16_e32 v13, v13, v29
	v_fma_f16 v15, v15, v36, -v18
	v_mul_f16_e32 v18, v82, v25
	v_fmac_f16_e32 v30, v27, v24
	v_add_f16_e32 v9, v9, v10
	v_add_f16_e32 v13, v13, v19
	v_mul_f16_e32 v23, v81, v24
	v_mul_f16_e32 v24, v82, v63
	v_fma_f16 v18, v28, v63, -v18
	v_add_f16_e32 v9, v9, v11
	v_add_f16_e32 v13, v13, v14
	v_fma_f16 v23, v27, v39, -v23
	v_fmac_f16_e32 v24, v28, v25
	v_sub_f16_e32 v25, v5, v18
	v_add_f16_e32 v9, v9, v15
	v_add_f16_e32 v13, v13, v30
	;; [unrolled: 1-line block ×4, first 2 shown]
	v_mul_f16_e32 v28, 0xb853, v25
	v_sub_f16_e32 v70, v16, v23
	v_add_f16_e32 v9, v9, v23
	v_sub_f16_e32 v31, v37, v24
	v_mul_f16_e32 v32, 0x3abb, v5
	v_fmamk_f16 v33, v27, 0x3abb, v28
	v_add_f16_e32 v13, v13, v24
	v_mul_f16_e32 v24, 0xbb47, v25
	v_mul_f16_e32 v35, 0x36a6, v5
	;; [unrolled: 1-line block ×8, first 2 shown]
	v_add_f16_e32 v72, v40, v30
	v_mul_f16_e32 v73, 0xbb47, v70
	v_add_f16_e32 v16, v16, v23
	v_add_f16_e32 v9, v9, v18
	v_fmamk_f16 v18, v31, 0x3853, v32
	v_add_f16_e32 v33, v4, v33
	v_fma_f16 v28, v27, 0x3abb, -v28
	v_fmac_f16_e32 v32, 0xb853, v31
	v_fmamk_f16 v34, v27, 0x36a6, v24
	v_fmamk_f16 v37, v31, 0x3b47, v35
	v_fma_f16 v24, v27, 0x36a6, -v24
	v_fmac_f16_e32 v35, 0xbb47, v31
	v_fmamk_f16 v39, v27, 0xb08e, v36
	v_fmamk_f16 v64, v31, 0x3beb, v63
	;; [unrolled: 4-line block ×4, first 2 shown]
	v_fma_f16 v23, v27, 0xbbad, -v25
	v_fmac_f16_e32 v5, 0xb482, v31
	v_sub_f16_e32 v25, v40, v30
	v_fmamk_f16 v27, v72, 0x36a6, v73
	v_mul_f16_e32 v30, 0x36a6, v16
	v_add_f16_e32 v18, v26, v18
	v_add_f16_e32 v28, v4, v28
	v_add_f16_e32 v32, v26, v32
	v_add_f16_e32 v34, v4, v34
	v_add_f16_e32 v37, v26, v37
	v_add_f16_e32 v24, v4, v24
	v_add_f16_e32 v35, v26, v35
	v_add_f16_e32 v39, v4, v39
	v_add_f16_e32 v64, v26, v64
	v_add_f16_e32 v36, v4, v36
	v_add_f16_e32 v63, v26, v63
	v_add_f16_e32 v67, v4, v67
	v_add_f16_e32 v68, v26, v68
	v_add_f16_e32 v65, v4, v65
	v_add_f16_e32 v66, v26, v66
	v_add_f16_e32 v69, v4, v69
	v_add_f16_e32 v31, v26, v71
	v_add_f16_e32 v4, v4, v23
	v_add_f16_e32 v5, v26, v5
	v_add_f16_e32 v23, v27, v33
	v_fmamk_f16 v26, v25, 0x3b47, v30
	v_mul_f16_e32 v27, 0xba0c, v70
	v_fma_f16 v33, v72, 0x36a6, -v73
	v_fmac_f16_e32 v30, 0xbb47, v25
	v_mul_f16_e32 v40, 0xb93d, v16
	v_add_f16_e32 v18, v26, v18
	v_fmamk_f16 v26, v72, 0xb93d, v27
	v_add_f16_e32 v28, v33, v28
	v_add_f16_e32 v30, v30, v32
	v_fmamk_f16 v32, v25, 0x3a0c, v40
	v_mul_f16_e32 v33, 0x3482, v70
	v_fma_f16 v27, v72, 0xb93d, -v27
	v_fmac_f16_e32 v40, 0xba0c, v25
	v_add_f16_e32 v26, v26, v34
	v_add_f16_e32 v32, v32, v37
	v_fmamk_f16 v34, v72, 0xbbad, v33
	v_mul_f16_e32 v37, 0xbbad, v16
	v_add_f16_e32 v24, v27, v24
	v_add_f16_e32 v27, v40, v35
	v_mul_f16_e32 v35, 0x3beb, v70
	v_add_f16_e32 v34, v34, v39
	v_fmamk_f16 v39, v25, 0xb482, v37
	v_fma_f16 v33, v72, 0xbbad, -v33
	v_fmac_f16_e32 v37, 0x3482, v25
	v_fmamk_f16 v40, v72, 0xb08e, v35
	v_mul_f16_e32 v71, 0xb08e, v16
	v_mul_f16_e32 v16, 0x3abb, v16
	v_add_f16_e32 v33, v33, v36
	v_add_f16_e32 v36, v37, v63
	;; [unrolled: 1-line block ×3, first 2 shown]
	v_fmamk_f16 v40, v25, 0xbbeb, v71
	v_fma_f16 v35, v72, 0xb08e, -v35
	v_fmac_f16_e32 v71, 0x3beb, v25
	v_mul_f16_e32 v63, 0x3853, v70
	v_fmamk_f16 v67, v25, 0xb853, v16
	v_add_f16_e32 v39, v39, v64
	v_add_f16_e32 v35, v35, v65
	;; [unrolled: 1-line block ×3, first 2 shown]
	v_sub_f16_e32 v66, v7, v15
	v_add_f16_e32 v7, v7, v15
	v_fmamk_f16 v64, v72, 0x3abb, v63
	v_add_f16_e32 v31, v67, v31
	v_add_f16_e32 v67, v6, v14
	v_mul_f16_e32 v15, 0xbbeb, v66
	v_fma_f16 v63, v72, 0x3abb, -v63
	v_fmac_f16_e32 v16, 0x3853, v25
	v_sub_f16_e32 v6, v6, v14
	v_mul_f16_e32 v14, 0xb08e, v7
	v_fmamk_f16 v25, v67, 0xb08e, v15
	v_add_f16_e32 v4, v63, v4
	v_add_f16_e32 v5, v16, v5
	v_mul_f16_e32 v16, 0x3482, v66
	v_fmamk_f16 v63, v6, 0x3beb, v14
	v_add_f16_e32 v23, v25, v23
	v_fma_f16 v15, v67, 0xb08e, -v15
	v_fmac_f16_e32 v14, 0xbbeb, v6
	v_fmamk_f16 v25, v67, 0xbbad, v16
	v_add_f16_e32 v18, v63, v18
	v_mul_f16_e32 v63, 0xbbad, v7
	v_add_f16_e32 v15, v15, v28
	v_add_f16_e32 v14, v14, v30
	;; [unrolled: 1-line block ×3, first 2 shown]
	v_mul_f16_e32 v26, 0x3b47, v66
	v_fmamk_f16 v28, v6, 0xb482, v63
	v_fma_f16 v16, v67, 0xbbad, -v16
	v_fmac_f16_e32 v63, 0x3482, v6
	v_mul_f16_e32 v30, 0x36a6, v7
	v_add_f16_e32 v40, v40, v68
	v_fmamk_f16 v68, v67, 0x36a6, v26
	v_add_f16_e32 v16, v16, v24
	v_add_f16_e32 v24, v63, v27
	v_fmamk_f16 v27, v6, 0xbb47, v30
	v_add_f16_e32 v28, v28, v32
	v_add_f16_e32 v32, v68, v34
	v_mul_f16_e32 v34, 0xb853, v66
	v_fma_f16 v26, v67, 0x36a6, -v26
	v_fmac_f16_e32 v30, 0x3b47, v6
	v_add_f16_e32 v27, v27, v39
	v_mul_f16_e32 v39, 0x3abb, v7
	v_fmamk_f16 v63, v67, 0x3abb, v34
	v_add_f16_e32 v26, v26, v33
	v_add_f16_e32 v30, v30, v36
	v_mul_f16_e32 v33, 0xba0c, v66
	v_fmamk_f16 v36, v6, 0x3853, v39
	v_add_f16_e32 v64, v64, v69
	v_add_f16_e32 v37, v63, v37
	v_fma_f16 v34, v67, 0x3abb, -v34
	v_fmac_f16_e32 v39, 0xb853, v6
	v_fmamk_f16 v63, v67, 0xb93d, v33
	v_add_f16_e32 v36, v36, v40
	v_mul_f16_e32 v7, 0xb93d, v7
	v_sub_f16_e32 v40, v17, v11
	v_add_f16_e32 v11, v17, v11
	v_add_f16_e32 v34, v34, v35
	;; [unrolled: 1-line block ×4, first 2 shown]
	v_fmamk_f16 v63, v6, 0x3a0c, v7
	v_fma_f16 v33, v67, 0xb93d, -v33
	v_add_f16_e32 v17, v38, v19
	v_mul_f16_e32 v64, 0xba0c, v40
	v_fmac_f16_e32 v7, 0xba0c, v6
	v_sub_f16_e32 v6, v38, v19
	v_mul_f16_e32 v19, 0xb93d, v11
	v_add_f16_e32 v4, v33, v4
	v_fmamk_f16 v38, v17, 0xb93d, v64
	v_add_f16_e32 v5, v7, v5
	v_mul_f16_e32 v33, 0x3beb, v40
	v_fmamk_f16 v7, v6, 0x3a0c, v19
	v_fmac_f16_e32 v19, 0xba0c, v6
	v_add_f16_e32 v31, v63, v31
	v_add_f16_e32 v23, v38, v23
	v_fma_f16 v38, v17, 0xb93d, -v64
	v_add_f16_e32 v7, v7, v18
	v_fmamk_f16 v18, v17, 0xb08e, v33
	v_mul_f16_e32 v63, 0xb08e, v11
	v_add_f16_e32 v14, v19, v14
	v_mul_f16_e32 v19, 0xb853, v40
	v_add_f16_e32 v15, v38, v15
	v_add_f16_e32 v18, v18, v25
	v_fmamk_f16 v25, v6, 0xbbeb, v63
	v_fma_f16 v33, v17, 0xb08e, -v33
	v_fmamk_f16 v38, v17, 0x3abb, v19
	v_mul_f16_e32 v64, 0x3abb, v11
	v_fma_f16 v19, v17, 0x3abb, -v19
	v_add_f16_e32 v25, v25, v28
	v_add_f16_e32 v16, v33, v16
	;; [unrolled: 1-line block ×3, first 2 shown]
	v_fmamk_f16 v32, v6, 0x3853, v64
	v_mul_f16_e32 v33, 0xb482, v40
	v_mul_f16_e32 v38, 0xbbad, v11
	v_add_f16_e32 v19, v19, v26
	v_mul_f16_e32 v40, 0x3b47, v40
	v_add_f16_e32 v27, v32, v27
	v_fmamk_f16 v32, v17, 0xbbad, v33
	v_fmamk_f16 v26, v6, 0x3482, v38
	v_fma_f16 v33, v17, 0xbbad, -v33
	v_fmac_f16_e32 v38, 0xb482, v6
	v_mul_f16_e32 v11, 0x36a6, v11
	v_fmac_f16_e32 v63, 0x3beb, v6
	v_add_f16_e32 v26, v26, v36
	v_fmamk_f16 v36, v17, 0x36a6, v40
	v_add_f16_e32 v33, v33, v34
	v_sub_f16_e32 v34, v12, v10
	v_add_f16_e32 v35, v38, v35
	v_add_f16_e32 v38, v8, v29
	;; [unrolled: 1-line block ×4, first 2 shown]
	v_mul_f16_e32 v39, 0xb482, v34
	v_fmac_f16_e32 v64, 0xb853, v6
	v_add_f16_e32 v32, v32, v37
	v_fmamk_f16 v37, v6, 0xbb47, v11
	v_fma_f16 v12, v17, 0x36a6, -v40
	v_fmac_f16_e32 v11, 0x3b47, v6
	v_sub_f16_e32 v6, v8, v29
	v_fmamk_f16 v8, v38, 0xbbad, v39
	v_mul_f16_e32 v17, 0xbbad, v10
	v_add_f16_e32 v29, v37, v31
	v_add_f16_e32 v4, v12, v4
	;; [unrolled: 1-line block ×4, first 2 shown]
	v_fmamk_f16 v11, v6, 0x3482, v17
	v_mul_f16_e32 v12, 0x3853, v34
	v_fma_f16 v23, v38, 0xbbad, -v39
	v_fmac_f16_e32 v17, 0xb482, v6
	v_mul_f16_e32 v31, 0x3abb, v10
	v_add_f16_e32 v7, v11, v7
	v_fmamk_f16 v11, v38, 0x3abb, v12
	v_add_f16_e32 v15, v23, v15
	v_add_f16_e32 v14, v17, v14
	v_fmamk_f16 v17, v6, 0xb853, v31
	v_mul_f16_e32 v23, 0xba0c, v34
	v_add_f16_e32 v24, v63, v24
	v_add_f16_e32 v11, v11, v18
	v_fma_f16 v12, v38, 0x3abb, -v12
	v_fmac_f16_e32 v31, 0x3853, v6
	v_add_f16_e32 v17, v17, v25
	v_fmamk_f16 v18, v38, 0xb93d, v23
	v_mul_f16_e32 v25, 0xb93d, v10
	v_add_f16_e32 v30, v64, v30
	v_add_f16_e32 v12, v12, v16
	;; [unrolled: 1-line block ×3, first 2 shown]
	v_mul_f16_e32 v24, 0x3b47, v34
	v_add_f16_e32 v18, v18, v28
	v_fmamk_f16 v28, v6, 0x3a0c, v25
	v_fma_f16 v23, v38, 0xb93d, -v23
	v_fmac_f16_e32 v25, 0xba0c, v6
	v_fmamk_f16 v31, v38, 0x36a6, v24
	v_mul_f16_e32 v37, 0x36a6, v10
	v_mul_f16_e32 v10, 0xb08e, v10
	v_add_f16_e32 v19, v23, v19
	v_add_f16_e32 v23, v25, v30
	v_mul_f16_e32 v30, 0xbbeb, v34
	v_add_f16_e32 v27, v28, v27
	v_add_f16_e32 v25, v31, v32
	v_fmamk_f16 v28, v6, 0xbb47, v37
	v_fmamk_f16 v32, v6, 0x3beb, v10
	;; [unrolled: 1-line block ×3, first 2 shown]
	v_fma_f16 v24, v38, 0x36a6, -v24
	v_fmac_f16_e32 v37, 0x3b47, v6
	v_fma_f16 v30, v38, 0xb08e, -v30
	v_fmac_f16_e32 v10, 0xbbeb, v6
	v_pack_b32_f16 v6, v13, v9
	v_pack_b32_f16 v7, v8, v7
	v_add_f16_e32 v26, v28, v26
	v_add_f16_e32 v8, v31, v36
	;; [unrolled: 1-line block ×7, first 2 shown]
	ds_store_2addr_b32 v41, v6, v7 offset1:110
	v_pack_b32_f16 v6, v11, v17
	v_pack_b32_f16 v7, v18, v27
	;; [unrolled: 1-line block ×9, first 2 shown]
	ds_store_2addr_b32 v2, v6, v7 offset0:92 offset1:202
	ds_store_2addr_b32 v0, v10, v8 offset0:56 offset1:166
	;; [unrolled: 1-line block ×4, first 2 shown]
	ds_store_b32 v41, v12 offset:4400
	global_wb scope:SCOPE_SE
	s_wait_dscnt 0x0
	s_barrier_signal -1
	s_barrier_wait -1
	global_inv scope:SCOPE_SE
	ds_load_2addr_b32 v[4:5], v41 offset1:110
	s_wait_dscnt 0x0
	v_lshrrev_b32_e32 v1, 16, v4
	s_delay_alu instid0(VALU_DEP_1) | instskip(NEXT) | instid1(VALU_DEP_1)
	v_mul_f16_e32 v6, v62, v1
	v_fmac_f16_e32 v6, v61, v4
	v_mul_f16_e32 v4, v62, v4
	s_delay_alu instid0(VALU_DEP_2) | instskip(NEXT) | instid1(VALU_DEP_2)
	v_cvt_f32_f16_e32 v6, v6
	v_fma_f16 v1, v61, v1, -v4
	s_delay_alu instid0(VALU_DEP_2) | instskip(NEXT) | instid1(VALU_DEP_2)
	v_cvt_f64_f32_e32 v[6:7], v6
	v_cvt_f32_f16_e32 v1, v1
	s_delay_alu instid0(VALU_DEP_1) | instskip(SKIP_3) | instid1(VALU_DEP_1)
	v_cvt_f64_f32_e32 v[8:9], v1
	ds_load_2addr_b32 v[0:1], v0 offset0:56 offset1:221
	s_wait_dscnt 0x0
	v_lshrrev_b32_e32 v4, 16, v1
	v_mul_f16_e32 v10, v60, v4
	s_delay_alu instid0(VALU_DEP_1) | instskip(SKIP_3) | instid1(VALU_DEP_3)
	v_fmac_f16_e32 v10, v58, v1
	s_wait_alu 0xfffe
	v_mul_f64_e32 v[6:7], s[10:11], v[6:7]
	v_mul_f16_e32 v1, v60, v1
	v_cvt_f32_f16_e32 v10, v10
	v_mul_f64_e32 v[8:9], s[10:11], v[8:9]
	s_delay_alu instid0(VALU_DEP_3) | instskip(NEXT) | instid1(VALU_DEP_1)
	v_fma_f16 v1, v58, v4, -v1
	v_cvt_f32_f16_e32 v1, v1
	v_and_or_b32 v6, 0x1ff, v7, v6
	v_lshrrev_b32_e32 v11, 8, v7
	v_bfe_u32 v12, v7, 20, 11
	s_delay_alu instid0(VALU_DEP_3)
	v_cmp_ne_u32_e64 s0, 0, v6
	v_and_or_b32 v8, 0x1ff, v9, v8
	v_lshrrev_b32_e32 v16, 8, v9
	v_bfe_u32 v17, v9, 20, 11
	v_add_nc_u32_e32 v18, 0xfffffc10, v12
	s_wait_alu 0xf1ff
	v_cndmask_b32_e64 v6, 0, 1, s0
	v_cmp_ne_u32_e64 s0, 0, v8
	v_lshrrev_b32_e32 v9, 16, v9
	s_delay_alu instid0(VALU_DEP_3) | instskip(SKIP_3) | instid1(VALU_DEP_3)
	v_and_or_b32 v6, 0xffe, v11, v6
	v_sub_nc_u32_e32 v11, 0x3f1, v12
	s_wait_alu 0xf1ff
	v_cndmask_b32_e64 v8, 0, 1, s0
	v_or_b32_e32 v13, 0x1000, v6
	s_delay_alu instid0(VALU_DEP_3) | instskip(SKIP_1) | instid1(VALU_DEP_4)
	v_med3_i32 v14, v11, 0, 13
	v_cvt_f64_f32_e32 v[10:11], v10
	v_and_or_b32 v4, 0xffe, v16, v8
	v_sub_nc_u32_e32 v8, 0x3f1, v17
	v_add_nc_u32_e32 v17, 0xfffffc10, v17
	v_lshrrev_b32_e32 v15, v14, v13
	s_delay_alu instid0(VALU_DEP_4) | instskip(NEXT) | instid1(VALU_DEP_4)
	v_or_b32_e32 v16, 0x1000, v4
	v_med3_i32 v8, v8, 0, 13
	s_delay_alu instid0(VALU_DEP_4) | instskip(NEXT) | instid1(VALU_DEP_4)
	v_cmp_gt_i32_e64 s2, 1, v17
	v_lshlrev_b32_e32 v14, v14, v15
	s_delay_alu instid0(VALU_DEP_3) | instskip(NEXT) | instid1(VALU_DEP_2)
	v_lshrrev_b32_e32 v19, v8, v16
	v_cmp_ne_u32_e64 s0, v14, v13
	v_cvt_f64_f32_e32 v[12:13], v1
	s_wait_alu 0xf1ff
	s_delay_alu instid0(VALU_DEP_2) | instskip(SKIP_1) | instid1(VALU_DEP_2)
	v_cndmask_b32_e64 v14, 0, 1, s0
	v_cmp_gt_i32_e64 s0, 1, v18
	v_or_b32_e32 v1, v15, v14
	v_lshl_or_b32 v14, v18, 12, v6
	s_wait_alu 0xf1ff
	s_delay_alu instid0(VALU_DEP_1) | instskip(SKIP_2) | instid1(VALU_DEP_3)
	v_cndmask_b32_e64 v23, v14, v1, s0
	v_lshlrev_b32_e32 v1, v8, v19
	v_mad_co_u64_u32 v[14:15], null, s6, v22, 0
	v_and_b32_e32 v8, 7, v23
	s_delay_alu instid0(VALU_DEP_3) | instskip(SKIP_1) | instid1(VALU_DEP_4)
	v_cmp_ne_u32_e64 s0, v1, v16
	v_mul_f64_e32 v[10:11], s[10:11], v[10:11]
	v_mov_b32_e32 v1, v15
	s_wait_alu 0xf1ff
	s_delay_alu instid0(VALU_DEP_3) | instskip(SKIP_2) | instid1(VALU_DEP_3)
	v_cndmask_b32_e64 v16, 0, 1, s0
	v_cmp_lt_i32_e64 s0, 5, v8
	v_cmp_eq_u32_e64 s1, 3, v8
	v_or_b32_e32 v8, v19, v16
	v_mad_co_u64_u32 v[15:16], null, s7, v22, v[1:2]
	v_lshrrev_b32_e32 v1, 2, v23
	s_delay_alu instid0(VALU_DEP_4)
	s_or_b32 s0, s1, s0
	v_lshl_or_b32 v19, v17, 12, v4
	v_mul_f64_e32 v[12:13], s[10:11], v[12:13]
	s_wait_alu 0xfffe
	v_add_co_ci_u32_e64 v1, s0, 0, v1, s0
	v_cmp_ne_u32_e64 s0, 0, v6
	v_cndmask_b32_e64 v8, v19, v8, s2
	v_cmp_eq_u32_e64 s2, 0x40f, v18
	s_wait_alu 0xf1ff
	s_delay_alu instid0(VALU_DEP_3) | instskip(SKIP_3) | instid1(VALU_DEP_4)
	v_cndmask_b32_e64 v6, 0, 1, s0
	v_cmp_gt_i32_e64 s0, 31, v18
	v_and_b32_e32 v16, 7, v8
	v_lshrrev_b32_e32 v18, 16, v5
	v_lshl_or_b32 v6, v6, 9, 0x7c00
	s_wait_alu 0xf1ff
	v_cndmask_b32_e64 v1, 0x7c00, v1, s0
	v_cmp_lt_i32_e64 s0, 5, v16
	v_cmp_eq_u32_e64 s1, 3, v16
	v_mul_f16_e32 v16, v59, v18
	s_delay_alu instid0(VALU_DEP_4) | instskip(SKIP_1) | instid1(VALU_DEP_4)
	v_cndmask_b32_e64 v1, v1, v6, s2
	v_lshrrev_b32_e32 v6, 2, v8
	s_or_b32 s0, s1, s0
	s_delay_alu instid0(VALU_DEP_3)
	v_fmac_f16_e32 v16, v57, v5
	v_and_or_b32 v10, 0x1ff, v11, v10
	v_lshrrev_b32_e32 v22, 8, v11
	s_wait_alu 0xfffe
	v_add_co_ci_u32_e64 v6, s0, 0, v6, s0
	v_cmp_ne_u32_e64 s0, 0, v4
	v_cvt_f32_f16_e32 v16, v16
	v_bfe_u32 v23, v11, 20, 11
	v_lshrrev_b32_e32 v8, 16, v7
	v_mul_f16_e32 v5, v59, v5
	s_wait_alu 0xf1ff
	v_cndmask_b32_e64 v4, 0, 1, s0
	v_cmp_gt_i32_e64 s0, 31, v17
	v_lshrrev_b32_e32 v11, 16, v11
	v_fma_f16 v5, v57, v18, -v5
	s_delay_alu instid0(VALU_DEP_4)
	v_lshl_or_b32 v4, v4, 9, 0x7c00
	s_wait_alu 0xf1ff
	v_cndmask_b32_e64 v19, 0x7c00, v6, s0
	v_cmp_ne_u32_e64 s0, 0, v10
	v_mad_co_u64_u32 v[6:7], null, s4, v55, 0
	v_cvt_f32_f16_e32 v5, v5
	s_wait_alu 0xf1ff
	s_delay_alu instid0(VALU_DEP_3) | instskip(SKIP_2) | instid1(VALU_DEP_3)
	v_cndmask_b32_e64 v10, 0, 1, s0
	v_cmp_eq_u32_e64 s0, 0x40f, v17
	v_cvt_f64_f32_e32 v[16:17], v16
	v_and_or_b32 v10, 0xffe, v22, v10
	s_wait_alu 0xf1ff
	s_delay_alu instid0(VALU_DEP_3)
	v_cndmask_b32_e64 v4, v19, v4, s0
	v_sub_nc_u32_e32 v19, 0x3f1, v23
	v_and_or_b32 v22, 0x8000, v8, v1
	v_mov_b32_e32 v1, v7
	v_or_b32_e32 v24, 0x1000, v10
	v_and_or_b32 v9, 0x8000, v9, v4
	v_and_or_b32 v4, 0x1ff, v13, v12
	v_med3_i32 v19, v19, 0, 13
	v_mad_co_u64_u32 v[7:8], null, s5, v55, v[1:2]
	v_lshrrev_b32_e32 v8, 8, v13
	s_delay_alu instid0(VALU_DEP_4) | instskip(NEXT) | instid1(VALU_DEP_4)
	v_cmp_ne_u32_e64 s0, 0, v4
	v_lshrrev_b32_e32 v1, v19, v24
	v_bfe_u32 v12, v13, 20, 11
	s_wait_alu 0xf1ff
	s_delay_alu instid0(VALU_DEP_3) | instskip(NEXT) | instid1(VALU_DEP_3)
	v_cndmask_b32_e64 v4, 0, 1, s0
	v_lshlrev_b32_e32 v18, v19, v1
	v_and_b32_e32 v19, 0xffff, v22
	v_lshlrev_b64_e32 v[6:7], 2, v[6:7]
	s_delay_alu instid0(VALU_DEP_4)
	v_and_or_b32 v22, 0xffe, v8, v4
	v_sub_nc_u32_e32 v4, 0x3f1, v12
	v_cmp_ne_u32_e64 s0, v18, v24
	v_add_nc_u32_e32 v18, 0xfffffc10, v23
	v_lshl_or_b32 v19, v9, 16, v19
	v_or_b32_e32 v23, 0x1000, v22
	v_med3_i32 v24, v4, 0, 13
	v_cvt_f64_f32_e32 v[4:5], v5
	s_wait_alu 0xf1ff
	v_cndmask_b32_e64 v8, 0, 1, s0
	v_lshl_or_b32 v25, v18, 12, v10
	v_cmp_gt_i32_e64 s0, 1, v18
	v_lshrrev_b32_e32 v26, v24, v23
	v_add_nc_u32_e32 v12, 0xfffffc10, v12
	v_or_b32_e32 v1, v1, v8
	v_lshlrev_b64_e32 v[8:9], 2, v[14:15]
	v_mul_f64_e32 v[14:15], s[10:11], v[16:17]
	v_lshlrev_b32_e32 v24, v24, v26
	s_wait_alu 0xf1ff
	v_cndmask_b32_e64 v1, v25, v1, s0
	s_delay_alu instid0(VALU_DEP_4) | instskip(SKIP_2) | instid1(VALU_DEP_3)
	v_add_co_u32 v16, s0, s8, v8
	s_wait_alu 0xf1ff
	v_add_co_ci_u32_e64 v17, s0, s9, v9, s0
	v_and_b32_e32 v25, 7, v1
	v_cmp_ne_u32_e64 s0, v24, v23
	ds_load_2addr_b32 v[8:9], v3 offset0:75 offset1:185
	v_lshrrev_b32_e32 v1, 2, v1
	v_add_co_u32 v6, s2, v16, v6
	s_wait_alu 0xf1ff
	v_cndmask_b32_e64 v23, 0, 1, s0
	v_cmp_lt_i32_e64 s0, 5, v25
	v_cmp_eq_u32_e64 s1, 3, v25
	v_add_co_ci_u32_e64 v7, s2, v17, v7, s2
	s_delay_alu instid0(VALU_DEP_4) | instskip(SKIP_1) | instid1(VALU_DEP_4)
	v_or_b32_e32 v3, v26, v23
	v_lshl_or_b32 v23, v12, 12, v22
	s_or_b32 s0, s1, s0
	v_cmp_gt_i32_e64 s2, 1, v12
	s_wait_alu 0xfffe
	v_add_co_ci_u32_e64 v1, s0, 0, v1, s0
	v_cmp_ne_u32_e64 s0, 0, v10
	global_store_b32 v[6:7], v19, off
	s_wait_alu 0xf1ff
	v_cndmask_b32_e64 v16, v23, v3, s2
	v_cmp_eq_u32_e64 s2, 0x40f, v18
	v_mul_f64_e32 v[3:4], s[10:11], v[4:5]
	v_cndmask_b32_e64 v10, 0, 1, s0
	v_cmp_gt_i32_e64 s0, 31, v18
	v_and_b32_e32 v17, 7, v16
	s_wait_dscnt 0x0
	v_lshrrev_b32_e32 v5, 16, v8
	v_lshl_or_b32 v10, v10, 9, 0x7c00
	s_wait_alu 0xf1ff
	v_cndmask_b32_e64 v1, 0x7c00, v1, s0
	v_cmp_lt_i32_e64 s0, 5, v17
	v_cmp_eq_u32_e64 s1, 3, v17
	v_mul_f16_e32 v17, v56, v5
	v_and_or_b32 v14, 0x1ff, v15, v14
	v_cndmask_b32_e64 v1, v1, v10, s2
	v_lshrrev_b32_e32 v10, 2, v16
	s_or_b32 s0, s1, s0
	v_fmac_f16_e32 v17, v53, v8
	v_lshrrev_b32_e32 v18, 8, v15
	v_bfe_u32 v23, v15, 20, 11
	s_wait_alu 0xfffe
	v_add_co_ci_u32_e64 v10, s0, 0, v10, s0
	v_cmp_ne_u32_e64 s0, 0, v14
	v_cvt_f32_f16_e32 v16, v17
	v_and_or_b32 v1, 0x8000, v11, v1
	v_lshrrev_b32_e32 v15, 16, v15
	s_wait_alu 0xf1ff
	v_cndmask_b32_e64 v14, 0, 1, s0
	v_cvt_f64_f32_e32 v[16:17], v16
	v_cmp_ne_u32_e64 s0, 0, v22
	s_delay_alu instid0(VALU_DEP_3) | instskip(SKIP_2) | instid1(VALU_DEP_3)
	v_and_or_b32 v14, 0xffe, v18, v14
	v_sub_nc_u32_e32 v18, 0x3f1, v23
	s_wait_alu 0xf1ff
	v_cndmask_b32_e64 v22, 0, 1, s0
	v_cmp_gt_i32_e64 s0, 31, v12
	v_add_nc_u32_e32 v23, 0xfffffc10, v23
	v_or_b32_e32 v24, 0x1000, v14
	v_med3_i32 v18, v18, 0, 13
	v_lshl_or_b32 v22, v22, 9, 0x7c00
	s_wait_alu 0xf1ff
	v_cndmask_b32_e64 v10, 0x7c00, v10, s0
	v_cmp_eq_u32_e64 s0, 0x40f, v12
	v_and_or_b32 v3, 0x1ff, v4, v3
	v_lshrrev_b32_e32 v11, v18, v24
	v_lshrrev_b32_e32 v12, 16, v13
	s_wait_alu 0xf1ff
	v_cndmask_b32_e64 v10, v10, v22, s0
	v_and_b32_e32 v22, 0xffff, v1
	v_mul_f16_e32 v1, v56, v8
	v_lshlrev_b32_e32 v8, v18, v11
	v_cmp_ne_u32_e64 s0, 0, v3
	v_and_or_b32 v19, 0x8000, v12, v10
	v_lshrrev_b32_e32 v10, 8, v4
	v_fma_f16 v1, v53, v5, -v1
	v_bfe_u32 v18, v4, 20, 11
	s_wait_alu 0xf1ff
	v_cndmask_b32_e64 v3, 0, 1, s0
	v_cmp_ne_u32_e64 s0, v8, v24
	v_lshl_or_b32 v12, v23, 12, v14
	v_cvt_f32_f16_e32 v1, v1
	v_sub_nc_u32_e32 v8, 0x3f1, v18
	v_and_or_b32 v3, 0xffe, v10, v3
	s_wait_alu 0xf1ff
	v_cndmask_b32_e64 v5, 0, 1, s0
	v_cmp_gt_i32_e64 s0, 1, v23
	v_add_nc_u32_e32 v18, 0xfffffc10, v18
	v_med3_i32 v8, v8, 0, 13
	v_or_b32_e32 v24, 0x1000, v3
	v_or_b32_e32 v5, v11, v5
	v_cvt_f64_f32_e32 v[10:11], v1
	ds_load_2addr_b32 v[1:2], v2 offset0:92 offset1:202
	s_wait_alu 0xf1ff
	v_cndmask_b32_e64 v25, v12, v5, s0
	v_mul_f64_e32 v[12:13], s[10:11], v[16:17]
	v_lshrrev_b32_e32 v16, v8, v24
	s_mul_u64 s[0:1], s[4:5], 0x25d
	v_lshl_or_b32 v17, v19, 16, v22
	s_wait_alu 0xfffe
	s_lshl_b64 s[8:9], s[0:1], 2
	v_and_b32_e32 v19, 7, v25
	s_wait_alu 0xfffe
	v_add_co_u32 v5, s0, v6, s8
	v_lshlrev_b32_e32 v8, v8, v16
	s_wait_alu 0xf1ff
	v_add_co_ci_u32_e64 v6, s0, s9, v7, s0
	v_cmp_lt_i32_e64 s0, 5, v19
	v_cmp_eq_u32_e64 s1, 3, v19
	v_lshrrev_b32_e32 v7, 2, v25
	v_cmp_ne_u32_e64 s2, v8, v24
	global_store_b32 v[5:6], v17, off
	s_wait_dscnt 0x0
	v_lshrrev_b32_e32 v19, 16, v1
	s_or_b32 s0, s1, s0
	s_wait_alu 0xfffe
	v_add_co_ci_u32_e64 v7, s0, 0, v7, s0
	v_cndmask_b32_e64 v8, 0, 1, s2
	v_cmp_ne_u32_e64 s0, 0, v14
	v_mul_f16_e32 v22, v54, v19
	s_delay_alu instid0(VALU_DEP_3)
	v_or_b32_e32 v8, v16, v8
	v_lshl_or_b32 v16, v18, 12, v3
	s_wait_alu 0xf1ff
	v_cndmask_b32_e64 v14, 0, 1, s0
	v_cmp_gt_i32_e64 s0, 1, v18
	v_fmac_f16_e32 v22, v52, v1
	v_mul_f16_e32 v1, v54, v1
	s_delay_alu instid0(VALU_DEP_4)
	v_lshl_or_b32 v14, v14, 9, 0x7c00
	s_wait_alu 0xf1ff
	v_cndmask_b32_e64 v16, v16, v8, s0
	v_cmp_gt_i32_e64 s0, 31, v23
	v_fma_f16 v1, v52, v19, -v1
	v_and_or_b32 v12, 0x1ff, v13, v12
	s_wait_alu 0xf1ff
	s_delay_alu instid0(VALU_DEP_3)
	v_cndmask_b32_e64 v24, 0x7c00, v7, s0
	v_mul_f64_e32 v[7:8], s[10:11], v[10:11]
	v_and_b32_e32 v10, 7, v16
	v_cmp_eq_u32_e64 s0, 0x40f, v23
	v_cvt_f32_f16_e32 v11, v22
	v_cmp_ne_u32_e64 s2, 0, v12
	v_lshrrev_b32_e32 v16, 2, v16
	v_cmp_eq_u32_e64 s1, 3, v10
	s_wait_alu 0xf1ff
	v_cndmask_b32_e64 v14, v24, v14, s0
	v_cmp_lt_i32_e64 s0, 5, v10
	v_cvt_f64_f32_e32 v[10:11], v11
	v_cndmask_b32_e64 v12, 0, 1, s2
	v_lshrrev_b32_e32 v22, 8, v13
	v_bfe_u32 v23, v13, 20, 11
	s_or_b32 s0, s1, s0
	v_cvt_f32_f16_e32 v1, v1
	s_wait_alu 0xfffe
	v_add_co_ci_u32_e64 v16, s0, 0, v16, s0
	v_cmp_ne_u32_e64 s0, 0, v3
	v_and_or_b32 v12, 0xffe, v22, v12
	v_sub_nc_u32_e32 v22, 0x3f1, v23
	v_and_or_b32 v14, 0x8000, v15, v14
	s_movk_i32 s2, 0xfe11
	s_wait_alu 0xf1ff
	v_cndmask_b32_e64 v3, 0, 1, s0
	v_cmp_gt_i32_e64 s0, 31, v18
	v_or_b32_e32 v24, 0x1000, v12
	v_med3_i32 v22, v22, 0, 13
	v_and_b32_e32 v14, 0xffff, v14
	v_lshl_or_b32 v3, v3, 9, 0x7c00
	s_wait_alu 0xf1ff
	v_cndmask_b32_e64 v16, 0x7c00, v16, s0
	v_cmp_eq_u32_e64 s0, 0x40f, v18
	v_lshrrev_b32_e32 v19, v22, v24
	v_lshrrev_b32_e32 v18, 16, v4
	s_mov_b32 s3, -1
	s_wait_alu 0xf1ff
	v_cndmask_b32_e64 v16, v16, v3, s0
	v_cvt_f64_f32_e32 v[3:4], v1
	v_lshlrev_b32_e32 v1, v22, v19
	v_and_or_b32 v7, 0x1ff, v8, v7
	s_delay_alu instid0(VALU_DEP_4) | instskip(SKIP_1) | instid1(VALU_DEP_4)
	v_and_or_b32 v15, 0x8000, v18, v16
	v_add_nc_u32_e32 v16, 0xfffffc10, v23
	v_cmp_ne_u32_e64 s0, v1, v24
	v_lshrrev_b32_e32 v17, 8, v8
	v_bfe_u32 v18, v8, 20, 11
	v_lshl_or_b32 v22, v15, 16, v14
	v_lshrrev_b32_e32 v23, 16, v9
	s_wait_alu 0xf1ff
	v_cndmask_b32_e64 v1, 0, 1, s0
	v_cmp_ne_u32_e64 s0, 0, v7
	v_mul_f64_e32 v[10:11], s[10:11], v[10:11]
	v_lshrrev_b32_e32 v8, 16, v8
	s_delay_alu instid0(VALU_DEP_4) | instskip(SKIP_4) | instid1(VALU_DEP_3)
	v_or_b32_e32 v1, v19, v1
	s_wait_alu 0xf1ff
	v_cndmask_b32_e64 v7, 0, 1, s0
	v_lshl_or_b32 v19, v16, 12, v12
	v_cmp_gt_i32_e64 s0, 1, v16
	v_and_or_b32 v7, 0xffe, v17, v7
	v_sub_nc_u32_e32 v17, 0x3f1, v18
	s_wait_alu 0xf1ff
	s_delay_alu instid0(VALU_DEP_3)
	v_cndmask_b32_e64 v1, v19, v1, s0
	s_wait_alu 0xfffe
	s_mul_u64 s[0:1], s[4:5], s[2:3]
	v_add_nc_u32_e32 v18, 0xfffffc10, v18
	v_or_b32_e32 v19, 0x1000, v7
	v_med3_i32 v17, v17, 0, 13
	s_wait_alu 0xfffe
	s_lshl_b64 s[12:13], s[0:1], 2
	v_and_b32_e32 v14, 7, v1
	s_wait_alu 0xfffe
	v_add_co_u32 v5, s0, v5, s12
	v_lshrrev_b32_e32 v15, v17, v19
	s_wait_alu 0xf1ff
	v_add_co_ci_u32_e64 v6, s0, s13, v6, s0
	v_cmp_lt_i32_e64 s0, 5, v14
	v_cmp_eq_u32_e64 s1, 3, v14
	v_lshlrev_b32_e32 v17, v17, v15
	v_mul_f64_e32 v[3:4], s[10:11], v[3:4]
	v_lshrrev_b32_e32 v1, 2, v1
	v_mul_f16_e32 v14, v51, v23
	s_or_b32 s0, s1, s0
	v_cmp_ne_u32_e64 s2, v17, v19
	v_lshl_or_b32 v19, v18, 12, v7
	s_wait_alu 0xfffe
	v_add_co_ci_u32_e64 v1, s0, 0, v1, s0
	v_cmp_ne_u32_e64 s0, 0, v12
	s_wait_alu 0xf1ff
	v_cndmask_b32_e64 v17, 0, 1, s2
	v_fmac_f16_e32 v14, v50, v9
	v_mul_f16_e32 v9, v51, v9
	v_and_or_b32 v10, 0x1ff, v11, v10
	v_cndmask_b32_e64 v12, 0, 1, s0
	v_or_b32_e32 v17, v15, v17
	v_cmp_gt_i32_e64 s0, 1, v18
	v_cvt_f32_f16_e32 v14, v14
	v_bfe_u32 v24, v11, 20, 11
	v_lshl_or_b32 v12, v12, 9, 0x7c00
	v_fma_f16 v9, v50, v23, -v9
	s_wait_alu 0xf1ff
	v_cndmask_b32_e64 v17, v19, v17, s0
	v_cmp_ne_u32_e64 s0, 0, v10
	v_lshrrev_b32_e32 v19, 8, v11
	v_cvt_f64_f32_e32 v[14:15], v14
	global_store_b32 v[5:6], v22, off
	v_and_b32_e32 v25, 7, v17
	s_wait_alu 0xf1ff
	v_cndmask_b32_e64 v10, 0, 1, s0
	v_cmp_gt_i32_e64 s0, 31, v16
	v_lshrrev_b32_e32 v11, 16, v11
	v_cmp_eq_u32_e64 s1, 3, v25
	s_delay_alu instid0(VALU_DEP_4)
	v_and_or_b32 v19, 0xffe, v19, v10
	s_wait_alu 0xf1ff
	v_cndmask_b32_e64 v1, 0x7c00, v1, s0
	v_sub_nc_u32_e32 v10, 0x3f1, v24
	v_cmp_eq_u32_e64 s0, 0x40f, v16
	v_lshrrev_b32_e32 v16, 16, v13
	v_lshrrev_b32_e32 v13, 2, v17
	v_add_nc_u32_e32 v24, 0xfffffc10, v24
	v_med3_i32 v10, v10, 0, 13
	s_wait_alu 0xf1ff
	v_cndmask_b32_e64 v1, v1, v12, s0
	v_or_b32_e32 v12, 0x1000, v19
	v_cmp_lt_i32_e64 s0, 5, v25
	v_and_or_b32 v3, 0x1ff, v4, v3
	v_bfe_u32 v23, v4, 20, 11
	v_and_or_b32 v1, 0x8000, v16, v1
	v_lshrrev_b32_e32 v17, v10, v12
	s_or_b32 s0, s1, s0
	s_wait_alu 0xfffe
	v_add_co_ci_u32_e64 v25, s0, 0, v13, s0
	s_delay_alu instid0(VALU_DEP_2) | instskip(SKIP_4) | instid1(VALU_DEP_3)
	v_lshlrev_b32_e32 v10, v10, v17
	v_cmp_ne_u32_e64 s0, 0, v3
	v_lshrrev_b32_e32 v13, 8, v4
	v_sub_nc_u32_e32 v27, 0x3f1, v23
	s_wait_alu 0xf1ff
	v_cndmask_b32_e64 v3, 0, 1, s0
	v_cmp_ne_u32_e64 s0, v10, v12
	v_cvt_f32_f16_e32 v12, v9
	s_delay_alu instid0(VALU_DEP_3) | instskip(SKIP_1) | instid1(VALU_DEP_3)
	v_and_or_b32 v3, 0xffe, v13, v3
	s_wait_alu 0xf1ff
	v_cndmask_b32_e64 v26, 0, 1, s0
	v_cmp_ne_u32_e64 s0, 0, v7
	v_mul_f64_e32 v[9:10], s[10:11], v[14:15]
	v_lshl_or_b32 v15, v24, 12, v19
	v_cvt_f64_f32_e32 v[12:13], v12
	v_or_b32_e32 v14, v17, v26
	s_wait_alu 0xf1ff
	v_cndmask_b32_e64 v7, 0, 1, s0
	v_cmp_gt_i32_e64 s0, 31, v18
	v_or_b32_e32 v17, 0x1000, v3
	v_med3_i32 v26, v27, 0, 13
	s_delay_alu instid0(VALU_DEP_4) | instskip(SKIP_4) | instid1(VALU_DEP_1)
	v_lshl_or_b32 v7, v7, 9, 0x7c00
	s_wait_alu 0xf1ff
	v_cndmask_b32_e64 v25, 0x7c00, v25, s0
	v_cmp_gt_i32_e64 s0, 1, v24
	s_wait_alu 0xf1ff
	v_cndmask_b32_e64 v14, v15, v14, s0
	v_lshrrev_b32_e32 v15, v26, v17
	v_cmp_eq_u32_e64 s0, 0x40f, v18
	s_delay_alu instid0(VALU_DEP_3) | instskip(SKIP_1) | instid1(VALU_DEP_2)
	v_and_b32_e32 v18, 7, v14
	s_wait_alu 0xf1ff
	v_cndmask_b32_e64 v7, v25, v7, s0
	v_lshlrev_b32_e32 v25, v26, v15
	s_delay_alu instid0(VALU_DEP_3) | instskip(NEXT) | instid1(VALU_DEP_3)
	v_cmp_lt_i32_e64 s0, 5, v18
	v_and_or_b32 v16, 0x8000, v8, v7
	s_delay_alu instid0(VALU_DEP_3) | instskip(SKIP_2) | instid1(VALU_DEP_2)
	v_cmp_ne_u32_e64 s1, v25, v17
	v_add_nc_u32_e32 v17, 0xfffffc10, v23
	s_wait_alu 0xf1ff
	v_cndmask_b32_e64 v7, 0, 1, s1
	v_cmp_eq_u32_e64 s1, 3, v18
	v_and_b32_e32 v18, 0xffff, v1
	v_lshrrev_b32_e32 v1, 2, v14
	v_lshl_or_b32 v8, v17, 12, v3
	v_or_b32_e32 v7, v15, v7
	s_or_b32 s0, s1, s0
	v_and_or_b32 v9, 0x1ff, v10, v9
	s_wait_alu 0xfffe
	v_add_co_ci_u32_e64 v1, s0, 0, v1, s0
	v_cmp_ne_u32_e64 s0, 0, v19
	v_lshrrev_b32_e32 v19, 16, v2
	v_lshrrev_b32_e32 v22, 8, v10
	v_bfe_u32 v23, v10, 20, 11
	v_lshl_or_b32 v18, v16, 16, v18
	s_wait_alu 0xf1ff
	v_cndmask_b32_e64 v14, 0, 1, s0
	v_cmp_gt_i32_e64 s0, 1, v17
	v_lshrrev_b32_e32 v10, 16, v10
	s_wait_alu 0xf1ff
	s_delay_alu instid0(VALU_DEP_2)
	v_cndmask_b32_e64 v15, v8, v7, s0
	v_cmp_gt_i32_e64 s0, 31, v24
	v_mul_f64_e32 v[7:8], s[10:11], v[12:13]
	v_mul_f16_e32 v13, v49, v19
	v_lshl_or_b32 v12, v14, 9, 0x7c00
	v_and_b32_e32 v14, 7, v15
	s_wait_alu 0xf1ff
	v_cndmask_b32_e64 v1, 0x7c00, v1, s0
	v_cmp_ne_u32_e64 s0, 0, v9
	v_fmac_f16_e32 v13, v48, v2
	v_cmp_eq_u32_e64 s1, 3, v14
	s_wait_alu 0xf1ff
	s_delay_alu instid0(VALU_DEP_3) | instskip(SKIP_1) | instid1(VALU_DEP_2)
	v_cndmask_b32_e64 v9, 0, 1, s0
	v_cmp_eq_u32_e64 s0, 0x40f, v24
	v_and_or_b32 v9, 0xffe, v22, v9
	s_wait_alu 0xf1ff
	s_delay_alu instid0(VALU_DEP_2)
	v_cndmask_b32_e64 v1, v1, v12, s0
	v_cvt_f32_f16_e32 v12, v13
	v_cmp_lt_i32_e64 s0, 5, v14
	v_lshrrev_b32_e32 v14, 2, v15
	v_sub_nc_u32_e32 v22, 0x3f1, v23
	v_or_b32_e32 v15, 0x1000, v9
	v_cvt_f64_f32_e32 v[12:13], v12
	s_or_b32 s0, s1, s0
	v_and_or_b32 v25, 0x8000, v11, v1
	s_wait_alu 0xfffe
	v_add_co_ci_u32_e64 v14, s0, 0, v14, s0
	v_med3_i32 v22, v22, 0, 13
	v_cmp_ne_u32_e64 s0, 0, v3
	v_mul_f16_e32 v1, v49, v2
	v_and_b32_e32 v16, 0xffff, v25
	s_delay_alu instid0(VALU_DEP_4)
	v_lshrrev_b32_e32 v24, v22, v15
	s_wait_alu 0xf1ff
	v_cndmask_b32_e64 v3, 0, 1, s0
	v_cmp_gt_i32_e64 s0, 31, v17
	v_fma_f16 v1, v48, v19, -v1
	v_add_nc_u32_e32 v19, 0xe00, v41
	v_lshlrev_b32_e32 v2, v22, v24
	v_lshl_or_b32 v3, v3, 9, 0x7c00
	s_wait_alu 0xf1ff
	v_cndmask_b32_e64 v14, 0x7c00, v14, s0
	v_cmp_eq_u32_e64 s0, 0x40f, v17
	v_cvt_f32_f16_e32 v1, v1
	v_lshrrev_b32_e32 v17, 16, v4
	v_lshrrev_b32_e32 v11, 8, v8
	s_wait_alu 0xf1ff
	v_cndmask_b32_e64 v14, v14, v3, s0
	v_and_or_b32 v3, 0x1ff, v8, v7
	v_cmp_ne_u32_e64 s0, v2, v15
	v_cvt_f64_f32_e32 v[1:2], v1
	v_bfe_u32 v15, v8, 20, 11
	v_add_nc_u32_e32 v7, 0xfffffc10, v23
	v_and_or_b32 v14, 0x8000, v17, v14
	s_wait_alu 0xf1ff
	v_cndmask_b32_e64 v4, 0, 1, s0
	v_cmp_ne_u32_e64 s0, 0, v3
	v_lshl_or_b32 v23, v7, 12, v9
	v_lshl_or_b32 v25, v14, 16, v16
	s_delay_alu instid0(VALU_DEP_4) | instskip(SKIP_3) | instid1(VALU_DEP_2)
	v_or_b32_e32 v22, v24, v4
	s_wait_alu 0xf1ff
	v_cndmask_b32_e64 v3, 0, 1, s0
	v_cmp_gt_i32_e64 s0, 1, v7
	v_and_or_b32 v24, 0xffe, v11, v3
	ds_load_2addr_b32 v[3:4], v19 offset0:39 offset1:149
	v_sub_nc_u32_e32 v19, 0x3f1, v15
	v_mul_f64_e32 v[11:12], s[10:11], v[12:13]
	s_wait_alu 0xf1ff
	v_cndmask_b32_e64 v22, v23, v22, s0
	v_or_b32_e32 v13, 0x1000, v24
	v_add_co_u32 v5, s0, v5, s8
	v_med3_i32 v19, v19, 0, 13
	s_delay_alu instid0(VALU_DEP_4)
	v_and_b32_e32 v17, 7, v22
	s_wait_alu 0xf1ff
	v_add_co_ci_u32_e64 v6, s0, s9, v6, s0
	v_lshrrev_b32_e32 v16, 2, v22
	v_lshrrev_b32_e32 v23, v19, v13
	v_cmp_lt_i32_e64 s0, 5, v17
	v_cmp_eq_u32_e64 s1, 3, v17
	s_delay_alu instid0(VALU_DEP_3) | instskip(SKIP_1) | instid1(VALU_DEP_3)
	v_lshlrev_b32_e32 v14, v19, v23
	v_add_nc_u32_e32 v19, 0xfffffc10, v15
	s_or_b32 s0, s1, s0
	s_wait_dscnt 0x0
	v_lshrrev_b32_e32 v17, 16, v3
	s_wait_alu 0xfffe
	v_add_co_ci_u32_e64 v15, s0, 0, v16, s0
	v_cmp_ne_u32_e64 s2, v14, v13
	v_cmp_ne_u32_e64 s0, 0, v9
	v_mul_f16_e32 v14, v47, v17
	v_lshl_or_b32 v16, v19, 12, v24
	v_mul_f64_e32 v[1:2], s[10:11], v[1:2]
	s_wait_alu 0xf1ff
	v_cndmask_b32_e64 v13, 0, 1, s2
	v_cndmask_b32_e64 v9, 0, 1, s0
	v_fmac_f16_e32 v14, v46, v3
	v_cmp_gt_i32_e64 s0, 1, v19
	v_mul_f16_e32 v3, v47, v3
	v_or_b32_e32 v13, v23, v13
	v_lshl_or_b32 v9, v9, 9, 0x7c00
	s_delay_alu instid0(VALU_DEP_3) | instskip(SKIP_1) | instid1(VALU_DEP_3)
	v_fma_f16 v3, v46, v17, -v3
	s_wait_alu 0xf1ff
	v_cndmask_b32_e64 v22, v16, v13, s0
	v_cvt_f32_f16_e32 v13, v14
	v_cmp_gt_i32_e64 s0, 31, v7
	v_and_or_b32 v11, 0x1ff, v12, v11
	v_cvt_f32_f16_e32 v3, v3
	v_and_b32_e32 v26, 7, v22
	v_cvt_f64_f32_e32 v[13:14], v13
	s_wait_alu 0xf1ff
	v_cndmask_b32_e64 v23, 0x7c00, v15, s0
	v_add_co_u32 v15, s0, v5, s12
	s_wait_alu 0xf1ff
	v_add_co_ci_u32_e64 v16, s0, s13, v6, s0
	v_cmp_eq_u32_e64 s0, 0x40f, v7
	v_cmp_ne_u32_e64 s1, 0, v11
	v_lshrrev_b32_e32 v22, 2, v22
	v_lshrrev_b32_e32 v11, 8, v12
	s_clause 0x1
	global_store_b32 v[5:6], v18, off
	global_store_b32 v[15:16], v25, off
	s_wait_alu 0xf1ff
	v_cndmask_b32_e64 v7, v23, v9, s0
	v_cmp_lt_i32_e64 s0, 5, v26
	v_cndmask_b32_e64 v9, 0, 1, s1
	v_cmp_eq_u32_e64 s1, 3, v26
	v_bfe_u32 v23, v12, 20, 11
	v_and_or_b32 v27, 0x8000, v10, v7
	v_lshrrev_b32_e32 v12, 16, v12
	v_and_or_b32 v11, 0xffe, v11, v9
	s_or_b32 s0, s1, s0
	v_sub_nc_u32_e32 v9, 0x3f1, v23
	s_wait_alu 0xfffe
	v_add_co_ci_u32_e64 v22, s0, 0, v22, s0
	v_cmp_ne_u32_e64 s0, 0, v24
	v_or_b32_e32 v26, 0x1000, v11
	v_med3_i32 v9, v9, 0, 13
	v_and_or_b32 v1, 0x1ff, v2, v1
	v_bfe_u32 v28, v2, 20, 11
	s_wait_alu 0xf1ff
	v_cndmask_b32_e64 v24, 0, 1, s0
	v_cmp_gt_i32_e64 s0, 31, v19
	v_lshrrev_b32_e32 v10, v9, v26
	v_add_nc_u32_e32 v17, 0xfffffc10, v23
	s_delay_alu instid0(VALU_DEP_4)
	v_lshl_or_b32 v24, v24, 9, 0x7c00
	s_wait_alu 0xf1ff
	v_cndmask_b32_e64 v22, 0x7c00, v22, s0
	v_cmp_eq_u32_e64 s0, 0x40f, v19
	v_lshlrev_b32_e32 v9, v9, v10
	v_lshl_or_b32 v23, v17, 12, v11
	v_cmp_eq_u32_e64 s2, 0x40f, v17
	s_wait_alu 0xf1ff
	v_cndmask_b32_e64 v19, v22, v24, s0
	v_cmp_ne_u32_e64 s0, 0, v1
	v_lshrrev_b32_e32 v22, 16, v8
	v_lshrrev_b32_e32 v24, 8, v2
	v_mul_f64_e32 v[7:8], s[10:11], v[13:14]
	v_sub_nc_u32_e32 v13, 0x3f1, v28
	s_wait_alu 0xf1ff
	v_cndmask_b32_e64 v1, 0, 1, s0
	v_cmp_ne_u32_e64 s0, v9, v26
	v_lshrrev_b32_e32 v2, 16, v2
	s_delay_alu instid0(VALU_DEP_3) | instskip(SKIP_1) | instid1(VALU_DEP_3)
	v_and_or_b32 v1, 0xffe, v24, v1
	s_wait_alu 0xf1ff
	v_cndmask_b32_e64 v9, 0, 1, s0
	v_cmp_gt_i32_e64 s0, 1, v17
	s_delay_alu instid0(VALU_DEP_3) | instskip(NEXT) | instid1(VALU_DEP_3)
	v_or_b32_e32 v24, 0x1000, v1
	v_or_b32_e32 v14, v10, v9
	v_cvt_f64_f32_e32 v[9:10], v3
	v_med3_i32 v3, v13, 0, 13
	v_and_or_b32 v13, 0x8000, v22, v19
	v_and_b32_e32 v19, 0xffff, v27
	s_wait_alu 0xf1ff
	v_cndmask_b32_e64 v14, v23, v14, s0
	v_add_co_u32 v5, s0, v15, s8
	v_lshrrev_b32_e32 v22, v3, v24
	v_lshl_or_b32 v18, v13, 16, v19
	s_delay_alu instid0(VALU_DEP_4)
	v_and_b32_e32 v13, 7, v14
	v_lshrrev_b32_e32 v15, 16, v0
	s_wait_alu 0xf1ff
	v_add_co_ci_u32_e64 v6, s0, s9, v16, s0
	v_lshlrev_b32_e32 v3, v3, v22
	v_cmp_lt_i32_e64 s0, 5, v13
	v_add_nc_u32_e32 v16, 0xfffffc10, v28
	v_mul_f16_e32 v19, v45, v15
	s_delay_alu instid0(VALU_DEP_4) | instskip(NEXT) | instid1(VALU_DEP_2)
	v_cmp_ne_u32_e64 s1, v3, v24
	v_fmac_f16_e32 v19, v44, v0
	s_wait_alu 0xf1ff
	s_delay_alu instid0(VALU_DEP_2)
	v_cndmask_b32_e64 v3, 0, 1, s1
	v_cmp_eq_u32_e64 s1, 3, v13
	v_lshrrev_b32_e32 v13, 2, v14
	v_lshl_or_b32 v14, v16, 12, v1
	v_and_or_b32 v7, 0x1ff, v8, v7
	v_or_b32_e32 v3, v22, v3
	s_or_b32 s0, s1, s0
	v_bfe_u32 v23, v8, 20, 11
	s_wait_alu 0xfffe
	v_add_co_ci_u32_e64 v22, s0, 0, v13, s0
	v_cmp_gt_i32_e64 s0, 1, v16
	v_cvt_f32_f16_e32 v13, v19
	v_lshrrev_b32_e32 v19, 8, v8
	s_wait_alu 0xf1ff
	s_delay_alu instid0(VALU_DEP_3) | instskip(SKIP_3) | instid1(VALU_DEP_4)
	v_cndmask_b32_e64 v3, v14, v3, s0
	v_cmp_ne_u32_e64 s0, 0, v7
	v_cvt_f64_f32_e32 v[13:14], v13
	v_mul_f64_e32 v[9:10], s[10:11], v[9:10]
	v_and_b32_e32 v24, 7, v3
	s_wait_alu 0xf1ff
	v_cndmask_b32_e64 v7, 0, 1, s0
	v_cmp_ne_u32_e64 s0, 0, v11
	v_lshrrev_b32_e32 v3, 2, v3
	v_cmp_eq_u32_e64 s1, 3, v24
	s_delay_alu instid0(VALU_DEP_4)
	v_and_or_b32 v7, 0xffe, v19, v7
	s_wait_alu 0xf1ff
	v_cndmask_b32_e64 v11, 0, 1, s0
	v_cmp_gt_i32_e64 s0, 31, v17
	v_sub_nc_u32_e32 v19, 0x3f1, v23
	v_or_b32_e32 v25, 0x1000, v7
	s_delay_alu instid0(VALU_DEP_4) | instskip(SKIP_4) | instid1(VALU_DEP_3)
	v_lshl_or_b32 v11, v11, 9, 0x7c00
	s_wait_alu 0xf1ff
	v_cndmask_b32_e64 v22, 0x7c00, v22, s0
	v_cmp_lt_i32_e64 s0, 5, v24
	v_med3_i32 v19, v19, 0, 13
	v_cndmask_b32_e64 v11, v22, v11, s2
	s_delay_alu instid0(VALU_DEP_3) | instskip(NEXT) | instid1(VALU_DEP_2)
	s_or_b32 s0, s1, s0
	v_lshrrev_b32_e32 v17, v19, v25
	s_wait_alu 0xfffe
	v_add_co_ci_u32_e64 v3, s0, 0, v3, s0
	v_cmp_ne_u32_e64 s0, 0, v1
	v_add_nc_u32_e32 v22, 0xfffffc10, v23
	v_lshlrev_b32_e32 v19, v19, v17
	v_and_or_b32 v11, 0x8000, v12, v11
	s_wait_alu 0xf1ff
	v_cndmask_b32_e64 v1, 0, 1, s0
	v_cmp_gt_i32_e64 s0, 31, v16
	s_delay_alu instid0(VALU_DEP_3) | instskip(NEXT) | instid1(VALU_DEP_3)
	v_and_b32_e32 v11, 0xffff, v11
	v_lshl_or_b32 v1, v1, 9, 0x7c00
	s_wait_alu 0xf1ff
	s_delay_alu instid0(VALU_DEP_3) | instskip(SKIP_3) | instid1(VALU_DEP_2)
	v_cndmask_b32_e64 v3, 0x7c00, v3, s0
	v_cmp_ne_u32_e64 s0, v19, v25
	v_and_or_b32 v9, 0x1ff, v10, v9
	s_wait_alu 0xf1ff
	v_cndmask_b32_e64 v19, 0, 1, s0
	v_cmp_eq_u32_e64 s0, 0x40f, v16
	v_mul_f16_e32 v16, v45, v0
	s_delay_alu instid0(VALU_DEP_3) | instskip(SKIP_1) | instid1(VALU_DEP_3)
	v_or_b32_e32 v12, v17, v19
	s_wait_alu 0xf1ff
	v_cndmask_b32_e64 v3, v3, v1, s0
	v_mul_f64_e32 v[0:1], s[10:11], v[13:14]
	v_lshl_or_b32 v13, v22, 12, v7
	v_fma_f16 v14, v44, v15, -v16
	v_cmp_gt_i32_e64 s0, 1, v22
	v_bfe_u32 v15, v10, 20, 11
	v_and_or_b32 v16, 0x8000, v2, v3
	s_wait_alu 0xf1ff
	s_delay_alu instid0(VALU_DEP_3)
	v_cndmask_b32_e64 v12, v13, v12, s0
	v_cmp_ne_u32_e64 s0, 0, v9
	v_cvt_f32_f16_e32 v13, v14
	v_lshrrev_b32_e32 v14, 8, v10
	v_lshl_or_b32 v16, v16, 16, v11
	v_and_b32_e32 v17, 7, v12
	s_wait_alu 0xf1ff
	v_cndmask_b32_e64 v9, 0, 1, s0
	v_cvt_f64_f32_e32 v[2:3], v13
	v_sub_nc_u32_e32 v13, 0x3f1, v15
	v_lshrrev_b32_e32 v11, 2, v12
	v_cmp_lt_i32_e64 s0, 5, v17
	v_and_or_b32 v9, 0xffe, v14, v9
	v_lshrrev_b32_e32 v14, 16, v4
	v_cmp_eq_u32_e64 s1, 3, v17
	v_med3_i32 v13, v13, 0, 13
	v_add_nc_u32_e32 v15, 0xfffffc10, v15
	v_or_b32_e32 v19, 0x1000, v9
	v_mul_f16_e32 v23, v43, v14
	s_or_b32 s0, s1, s0
	s_wait_alu 0xfffe
	v_add_co_ci_u32_e64 v11, s0, 0, v11, s0
	v_lshrrev_b32_e32 v17, v13, v19
	v_fmac_f16_e32 v23, v42, v4
	v_cmp_ne_u32_e64 s0, 0, v7
	v_mul_f16_e32 v4, v43, v4
	s_delay_alu instid0(VALU_DEP_4) | instskip(NEXT) | instid1(VALU_DEP_4)
	v_lshlrev_b32_e32 v13, v13, v17
	v_cvt_f32_f16_e32 v12, v23
	s_wait_alu 0xf1ff
	v_cndmask_b32_e64 v7, 0, 1, s0
	v_cmp_gt_i32_e64 s0, 31, v22
	v_and_or_b32 v0, 0x1ff, v1, v0
	v_fma_f16 v4, v42, v14, -v4
	v_lshl_or_b32 v14, v15, 12, v9
	v_lshl_or_b32 v7, v7, 9, 0x7c00
	s_wait_alu 0xf1ff
	v_cndmask_b32_e64 v23, 0x7c00, v11, s0
	v_cvt_f64_f32_e32 v[11:12], v12
	v_cmp_ne_u32_e64 s0, v13, v19
	v_lshrrev_b32_e32 v19, 8, v1
	v_cvt_f32_f16_e32 v4, v4
	s_wait_alu 0xf1ff
	s_delay_alu instid0(VALU_DEP_3) | instskip(SKIP_2) | instid1(VALU_DEP_3)
	v_cndmask_b32_e64 v13, 0, 1, s0
	v_cmp_ne_u32_e64 s0, 0, v0
	v_mul_f64_e32 v[2:3], s[10:11], v[2:3]
	v_or_b32_e32 v13, v17, v13
	s_wait_alu 0xf1ff
	s_delay_alu instid0(VALU_DEP_3) | instskip(SKIP_3) | instid1(VALU_DEP_4)
	v_cndmask_b32_e64 v0, 0, 1, s0
	v_bfe_u32 v17, v1, 20, 11
	v_cmp_gt_i32_e64 s0, 1, v15
	v_lshrrev_b32_e32 v1, 16, v1
	v_and_or_b32 v0, 0xffe, v19, v0
	s_delay_alu instid0(VALU_DEP_4)
	v_sub_nc_u32_e32 v19, 0x3f1, v17
	s_wait_alu 0xf1ff
	v_cndmask_b32_e64 v24, v14, v13, s0
	v_cmp_eq_u32_e64 s0, 0x40f, v22
	v_cvt_f64_f32_e32 v[13:14], v4
	v_or_b32_e32 v25, 0x1000, v0
	v_med3_i32 v19, v19, 0, 13
	v_lshrrev_b32_e32 v22, 16, v8
	s_wait_alu 0xf1ff
	v_cndmask_b32_e64 v4, v23, v7, s0
	v_and_b32_e32 v23, 7, v24
	v_add_co_u32 v7, s0, v5, s12
	v_lshrrev_b32_e32 v26, v19, v25
	s_wait_alu 0xf1ff
	v_add_co_ci_u32_e64 v8, s0, s13, v6, s0
	v_cmp_lt_i32_e64 s0, 5, v23
	v_cmp_eq_u32_e64 s1, 3, v23
	v_and_or_b32 v4, 0x8000, v22, v4
	v_lshrrev_b32_e32 v22, 2, v24
	v_lshlrev_b32_e32 v19, v19, v26
	v_add_nc_u32_e32 v17, 0xfffffc10, v17
	s_or_b32 s0, s1, s0
	v_mul_f64_e32 v[11:12], s[10:11], v[11:12]
	s_wait_alu 0xfffe
	v_add_co_ci_u32_e64 v22, s0, 0, v22, s0
	v_cmp_ne_u32_e64 s2, v19, v25
	v_cmp_ne_u32_e64 s0, 0, v9
	v_lshl_or_b32 v23, v17, 12, v0
	v_and_b32_e32 v4, 0xffff, v4
	s_wait_alu 0xf1ff
	v_cndmask_b32_e64 v19, 0, 1, s2
	v_cndmask_b32_e64 v9, 0, 1, s0
	v_cmp_gt_i32_e64 s0, 31, v15
	v_and_or_b32 v2, 0x1ff, v3, v2
	v_lshrrev_b32_e32 v24, 8, v3
	v_or_b32_e32 v19, v26, v19
	v_lshl_or_b32 v9, v9, 9, 0x7c00
	s_wait_alu 0xf1ff
	v_cndmask_b32_e64 v22, 0x7c00, v22, s0
	v_cmp_gt_i32_e64 s0, 1, v17
	s_wait_alu 0xf1ff
	s_delay_alu instid0(VALU_DEP_1) | instskip(SKIP_1) | instid1(VALU_DEP_2)
	v_cndmask_b32_e64 v19, v23, v19, s0
	v_cmp_eq_u32_e64 s0, 0x40f, v15
	v_and_b32_e32 v23, 7, v19
	s_wait_alu 0xf1ff
	s_delay_alu instid0(VALU_DEP_2)
	v_cndmask_b32_e64 v15, v22, v9, s0
	v_lshrrev_b32_e32 v22, 16, v10
	v_cmp_ne_u32_e64 s0, 0, v2
	v_mul_f64_e32 v[9:10], s[10:11], v[13:14]
	v_bfe_u32 v13, v3, 20, 11
	v_cmp_eq_u32_e64 s1, 3, v23
	v_and_or_b32 v14, 0x8000, v22, v15
	s_wait_alu 0xf1ff
	v_cndmask_b32_e64 v2, 0, 1, s0
	v_cmp_lt_i32_e64 s0, 5, v23
	v_sub_nc_u32_e32 v15, 0x3f1, v13
	v_add_nc_u32_e32 v13, 0xfffffc10, v13
	v_lshl_or_b32 v4, v14, 16, v4
	v_lshrrev_b32_e32 v14, 2, v19
	v_and_or_b32 v2, 0xffe, v24, v2
	s_or_b32 s0, s1, s0
	v_med3_i32 v15, v15, 0, 13
	v_and_or_b32 v11, 0x1ff, v12, v11
	s_wait_alu 0xfffe
	v_add_co_ci_u32_e64 v14, s0, 0, v14, s0
	v_or_b32_e32 v19, 0x1000, v2
	v_cmp_ne_u32_e64 s0, 0, v0
	v_lshrrev_b32_e32 v23, 8, v12
	v_bfe_u32 v24, v12, 20, 11
	v_lshrrev_b32_e32 v3, 16, v3
	v_lshrrev_b32_e32 v22, v15, v19
	s_wait_alu 0xf1ff
	v_cndmask_b32_e64 v0, 0, 1, s0
	v_cmp_gt_i32_e64 s0, 31, v17
	v_lshrrev_b32_e32 v12, 16, v12
	v_lshlrev_b32_e32 v15, v15, v22
	s_delay_alu instid0(VALU_DEP_4) | instskip(SKIP_4) | instid1(VALU_DEP_1)
	v_lshl_or_b32 v0, v0, 9, 0x7c00
	s_wait_alu 0xf1ff
	v_cndmask_b32_e64 v14, 0x7c00, v14, s0
	v_cmp_ne_u32_e64 s0, 0, v11
	s_wait_alu 0xf1ff
	v_cndmask_b32_e64 v11, 0, 1, s0
	v_cmp_ne_u32_e64 s0, v15, v19
	v_sub_nc_u32_e32 v19, 0x3f1, v24
	v_and_or_b32 v9, 0x1ff, v10, v9
	s_delay_alu instid0(VALU_DEP_4)
	v_and_or_b32 v11, 0xffe, v23, v11
	s_wait_alu 0xf1ff
	v_cndmask_b32_e64 v15, 0, 1, s0
	v_cmp_eq_u32_e64 s0, 0x40f, v17
	v_med3_i32 v19, v19, 0, 13
	v_bfe_u32 v23, v10, 20, 11
	v_or_b32_e32 v17, 0x1000, v11
	s_wait_alu 0xf1ff
	v_cndmask_b32_e64 v0, v14, v0, s0
	v_or_b32_e32 v14, v22, v15
	v_lshl_or_b32 v15, v13, 12, v2
	v_cmp_gt_i32_e64 s0, 1, v13
	v_lshrrev_b32_e32 v22, 8, v10
	v_and_or_b32 v0, 0x8000, v1, v0
	s_wait_alu 0xf1ff
	s_delay_alu instid0(VALU_DEP_3) | instskip(SKIP_3) | instid1(VALU_DEP_4)
	v_cndmask_b32_e64 v14, v15, v14, s0
	v_lshrrev_b32_e32 v15, v19, v17
	v_cmp_ne_u32_e64 s0, 0, v9
	v_and_b32_e32 v0, 0xffff, v0
	v_and_b32_e32 v25, 7, v14
	s_delay_alu instid0(VALU_DEP_4)
	v_lshlrev_b32_e32 v19, v19, v15
	s_wait_alu 0xf1ff
	v_cndmask_b32_e64 v9, 0, 1, s0
	v_lshrrev_b32_e32 v14, 2, v14
	v_cmp_lt_i32_e64 s0, 5, v25
	v_cmp_ne_u32_e64 s1, v19, v17
	s_delay_alu instid0(VALU_DEP_4)
	v_and_or_b32 v1, 0xffe, v22, v9
	v_sub_nc_u32_e32 v9, 0x3f1, v23
	v_add_nc_u32_e32 v22, 0xfffffc10, v24
	s_wait_alu 0xf1ff
	v_cndmask_b32_e64 v17, 0, 1, s1
	v_cmp_eq_u32_e64 s1, 3, v25
	v_or_b32_e32 v19, 0x1000, v1
	v_med3_i32 v9, v9, 0, 13
	v_lshl_or_b32 v24, v22, 12, v11
	v_or_b32_e32 v15, v15, v17
	s_or_b32 s0, s1, s0
	s_wait_alu 0xfffe
	v_add_co_ci_u32_e64 v14, s0, 0, v14, s0
	v_lshrrev_b32_e32 v17, v9, v19
	v_cmp_gt_i32_e64 s0, 1, v22
	s_delay_alu instid0(VALU_DEP_2) | instskip(SKIP_1) | instid1(VALU_DEP_2)
	v_lshlrev_b32_e32 v9, v9, v17
	s_wait_alu 0xf1ff
	v_cndmask_b32_e64 v15, v24, v15, s0
	v_cmp_ne_u32_e64 s0, 0, v2
	s_wait_alu 0xf1ff
	s_delay_alu instid0(VALU_DEP_1) | instskip(SKIP_3) | instid1(VALU_DEP_4)
	v_cndmask_b32_e64 v2, 0, 1, s0
	v_cmp_ne_u32_e64 s0, v9, v19
	v_add_nc_u32_e32 v19, 0xfffffc10, v23
	v_and_b32_e32 v23, 7, v15
	v_lshl_or_b32 v2, v2, 9, 0x7c00
	s_wait_alu 0xf1ff
	v_cndmask_b32_e64 v9, 0, 1, s0
	v_cmp_gt_i32_e64 s0, 31, v13
	v_cmp_gt_i32_e64 s2, 1, v19
	v_cmp_eq_u32_e64 s1, 3, v23
	s_delay_alu instid0(VALU_DEP_4) | instskip(SKIP_4) | instid1(VALU_DEP_3)
	v_or_b32_e32 v9, v17, v9
	v_lshl_or_b32 v17, v19, 12, v1
	s_wait_alu 0xf1ff
	v_cndmask_b32_e64 v14, 0x7c00, v14, s0
	v_cmp_lt_i32_e64 s0, 5, v23
	v_cndmask_b32_e64 v9, v17, v9, s2
	v_cmp_eq_u32_e64 s2, 0x40f, v13
	v_lshrrev_b32_e32 v13, 2, v15
	s_delay_alu instid0(VALU_DEP_4) | instskip(NEXT) | instid1(VALU_DEP_2)
	s_or_b32 s0, s1, s0
	v_cndmask_b32_e64 v2, v14, v2, s2
	s_wait_alu 0xfffe
	s_delay_alu instid0(VALU_DEP_2) | instskip(SKIP_4) | instid1(VALU_DEP_4)
	v_add_co_ci_u32_e64 v13, s0, 0, v13, s0
	v_and_b32_e32 v14, 7, v9
	v_cmp_ne_u32_e64 s0, 0, v11
	v_lshrrev_b32_e32 v9, 2, v9
	v_cmp_gt_i32_e64 s2, 31, v22
	v_cmp_eq_u32_e64 s1, 3, v14
	s_wait_alu 0xf1ff
	v_cndmask_b32_e64 v11, 0, 1, s0
	v_cmp_lt_i32_e64 s0, 5, v14
	v_cndmask_b32_e64 v13, 0x7c00, v13, s2
	s_delay_alu instid0(VALU_DEP_3) | instskip(NEXT) | instid1(VALU_DEP_3)
	v_lshl_or_b32 v11, v11, 9, 0x7c00
	s_or_b32 s0, s1, s0
	s_wait_alu 0xfffe
	v_add_co_ci_u32_e64 v9, s0, 0, v9, s0
	v_cmp_ne_u32_e64 s0, 0, v1
	s_wait_alu 0xf1ff
	s_delay_alu instid0(VALU_DEP_1) | instskip(SKIP_1) | instid1(VALU_DEP_2)
	v_cndmask_b32_e64 v1, 0, 1, s0
	v_cmp_eq_u32_e64 s0, 0x40f, v22
	v_lshl_or_b32 v1, v1, 9, 0x7c00
	s_wait_alu 0xf1ff
	s_delay_alu instid0(VALU_DEP_2) | instskip(SKIP_2) | instid1(VALU_DEP_3)
	v_cndmask_b32_e64 v11, v13, v11, s0
	v_cmp_gt_i32_e64 s0, 31, v19
	v_and_or_b32 v13, 0x8000, v3, v2
	v_and_or_b32 v11, 0x8000, v12, v11
	s_wait_alu 0xf1ff
	s_delay_alu instid0(VALU_DEP_3) | instskip(SKIP_3) | instid1(VALU_DEP_2)
	v_cndmask_b32_e64 v9, 0x7c00, v9, s0
	v_cmp_eq_u32_e64 s0, 0x40f, v19
	v_lshl_or_b32 v12, v13, 16, v0
	s_wait_alu 0xf1ff
	v_cndmask_b32_e64 v1, v9, v1, s0
	v_lshrrev_b32_e32 v9, 16, v10
	v_add_co_u32 v2, s0, v7, s8
	s_wait_alu 0xf1ff
	v_add_co_ci_u32_e64 v3, s0, s9, v8, s0
	s_delay_alu instid0(VALU_DEP_3) | instskip(SKIP_4) | instid1(VALU_DEP_3)
	v_and_or_b32 v0, 0x8000, v9, v1
	v_and_b32_e32 v1, 0xffff, v11
	v_add_co_u32 v9, s0, v2, s12
	s_wait_alu 0xf1ff
	v_add_co_ci_u32_e64 v10, s0, s13, v3, s0
	v_lshl_or_b32 v11, v0, 16, v1
	s_delay_alu instid0(VALU_DEP_3) | instskip(SKIP_1) | instid1(VALU_DEP_3)
	v_add_co_u32 v0, s0, v9, s8
	s_wait_alu 0xf1ff
	v_add_co_ci_u32_e64 v1, s0, s9, v10, s0
	global_store_b32 v[5:6], v18, off
	global_store_b32 v[7:8], v16, off
	;; [unrolled: 1-line block ×5, first 2 shown]
	s_and_b32 exec_lo, exec_lo, vcc_lo
	s_cbranch_execz .LBB0_23
; %bb.22:
	s_clause 0x1
	global_load_b32 v2, v[20:21], off offset:2200
	global_load_b32 v4, v[20:21], off offset:4620
	ds_load_b32 v3, v41 offset:2200
	ds_load_b32 v5, v41 offset:4620
	s_wait_dscnt 0x1
	v_lshrrev_b32_e32 v6, 16, v3
	s_wait_dscnt 0x0
	v_lshrrev_b32_e32 v9, 16, v5
	s_wait_loadcnt 0x1
	v_lshrrev_b32_e32 v7, 16, v2
	s_wait_loadcnt 0x0
	v_lshrrev_b32_e32 v10, 16, v4
	s_delay_alu instid0(VALU_DEP_2) | instskip(SKIP_1) | instid1(VALU_DEP_3)
	v_mul_f16_e32 v8, v6, v7
	v_mul_f16_e32 v7, v3, v7
	;; [unrolled: 1-line block ×3, first 2 shown]
	s_delay_alu instid0(VALU_DEP_3) | instskip(NEXT) | instid1(VALU_DEP_3)
	v_fmac_f16_e32 v8, v3, v2
	v_fma_f16 v2, v2, v6, -v7
	v_mul_f16_e32 v6, v5, v10
	s_delay_alu instid0(VALU_DEP_4) | instskip(NEXT) | instid1(VALU_DEP_4)
	v_fmac_f16_e32 v11, v5, v4
	v_cvt_f32_f16_e32 v3, v8
	s_delay_alu instid0(VALU_DEP_4) | instskip(NEXT) | instid1(VALU_DEP_4)
	v_cvt_f32_f16_e32 v5, v2
	v_fma_f16 v6, v4, v9, -v6
	s_delay_alu instid0(VALU_DEP_4) | instskip(NEXT) | instid1(VALU_DEP_4)
	v_cvt_f32_f16_e32 v7, v11
	v_cvt_f64_f32_e32 v[2:3], v3
	s_delay_alu instid0(VALU_DEP_4) | instskip(NEXT) | instid1(VALU_DEP_4)
	v_cvt_f64_f32_e32 v[4:5], v5
	v_cvt_f32_f16_e32 v8, v6
	s_delay_alu instid0(VALU_DEP_4) | instskip(NEXT) | instid1(VALU_DEP_2)
	v_cvt_f64_f32_e32 v[6:7], v7
	v_cvt_f64_f32_e32 v[8:9], v8
	v_mul_f64_e32 v[2:3], s[10:11], v[2:3]
	v_mul_f64_e32 v[4:5], s[10:11], v[4:5]
	s_delay_alu instid0(VALU_DEP_4) | instskip(NEXT) | instid1(VALU_DEP_4)
	v_mul_f64_e32 v[6:7], s[10:11], v[6:7]
	v_mul_f64_e32 v[8:9], s[10:11], v[8:9]
	s_delay_alu instid0(VALU_DEP_4) | instskip(NEXT) | instid1(VALU_DEP_4)
	v_and_or_b32 v2, 0x1ff, v3, v2
	v_and_or_b32 v4, 0x1ff, v5, v4
	v_lshrrev_b32_e32 v10, 8, v3
	v_and_or_b32 v6, 0x1ff, v7, v6
	v_bfe_u32 v11, v3, 20, 11
	v_cmp_ne_u32_e32 vcc_lo, 0, v2
	v_lshrrev_b32_e32 v12, 8, v5
	v_and_or_b32 v8, 0x1ff, v9, v8
	v_bfe_u32 v13, v5, 20, 11
	v_lshrrev_b32_e32 v14, 8, v7
	s_wait_alu 0xfffd
	v_cndmask_b32_e64 v2, 0, 1, vcc_lo
	v_cmp_ne_u32_e32 vcc_lo, 0, v4
	v_bfe_u32 v15, v7, 20, 11
	v_bfe_u32 v17, v9, 20, 11
	v_sub_nc_u32_e32 v18, 0x3f1, v11
	v_and_or_b32 v2, 0xffe, v10, v2
	s_wait_alu 0xfffd
	v_cndmask_b32_e64 v4, 0, 1, vcc_lo
	v_cmp_ne_u32_e32 vcc_lo, 0, v6
	v_add_nc_u32_e32 v11, 0xfffffc10, v11
	v_sub_nc_u32_e32 v19, 0x3f1, v13
	v_lshrrev_b32_e32 v16, 8, v9
	v_and_or_b32 v4, 0xffe, v12, v4
	s_wait_alu 0xfffd
	v_cndmask_b32_e64 v6, 0, 1, vcc_lo
	v_cmp_ne_u32_e32 vcc_lo, 0, v8
	v_add_nc_u32_e32 v13, 0xfffffc10, v13
	v_sub_nc_u32_e32 v20, 0x3f1, v15
	v_sub_nc_u32_e32 v21, 0x3f1, v17
	v_med3_i32 v10, v18, 0, 13
	s_wait_alu 0xfffd
	v_cndmask_b32_e64 v8, 0, 1, vcc_lo
	v_cmp_ne_u32_e32 vcc_lo, 0, v2
	v_med3_i32 v12, v19, 0, 13
	v_and_or_b32 v6, 0xffe, v14, v6
	v_or_b32_e32 v18, 0x1000, v2
	v_lshl_or_b32 v19, v11, 12, v2
	s_wait_alu 0xfffd
	v_cndmask_b32_e64 v2, 0, 1, vcc_lo
	v_cmp_ne_u32_e32 vcc_lo, 0, v4
	v_add_nc_u32_e32 v15, 0xfffffc10, v15
	v_med3_i32 v14, v20, 0, 13
	v_and_or_b32 v8, 0xffe, v16, v8
	v_med3_i32 v16, v21, 0, 13
	v_or_b32_e32 v20, 0x1000, v4
	v_lshl_or_b32 v21, v13, 12, v4
	s_wait_alu 0xfffd
	v_cndmask_b32_e64 v4, 0, 1, vcc_lo
	v_cmp_ne_u32_e32 vcc_lo, 0, v6
	v_lshrrev_b32_e32 v26, v10, v18
	v_add_nc_u32_e32 v17, 0xfffffc10, v17
	v_or_b32_e32 v22, 0x1000, v6
	v_lshl_or_b32 v23, v15, 12, v6
	s_wait_alu 0xfffd
	v_cndmask_b32_e64 v6, 0, 1, vcc_lo
	v_cmp_ne_u32_e32 vcc_lo, 0, v8
	v_lshrrev_b32_e32 v27, v12, v20
	v_lshlrev_b32_e32 v10, v10, v26
	v_or_b32_e32 v24, 0x1000, v8
	v_lshl_or_b32 v25, v17, 12, v8
	s_wait_alu 0xfffd
	v_cndmask_b32_e64 v8, 0, 1, vcc_lo
	v_lshrrev_b32_e32 v28, v14, v22
	v_lshlrev_b32_e32 v12, v12, v27
	v_cmp_ne_u32_e32 vcc_lo, v10, v18
	v_lshrrev_b32_e32 v29, v16, v24
	v_lshl_or_b32 v2, v2, 9, 0x7c00
	v_lshlrev_b32_e32 v14, v14, v28
	v_lshl_or_b32 v6, v6, 9, 0x7c00
	s_wait_alu 0xfffd
	v_cndmask_b32_e64 v10, 0, 1, vcc_lo
	v_cmp_ne_u32_e32 vcc_lo, v12, v20
	v_lshlrev_b32_e32 v16, v16, v29
	v_lshl_or_b32 v4, v4, 9, 0x7c00
	v_lshrrev_b32_e32 v3, 16, v3
	v_or_b32_e32 v10, v26, v10
	s_wait_alu 0xfffd
	v_cndmask_b32_e64 v12, 0, 1, vcc_lo
	v_cmp_ne_u32_e32 vcc_lo, v14, v22
	v_lshrrev_b32_e32 v7, 16, v7
	v_lshl_or_b32 v8, v8, 9, 0x7c00
	v_lshrrev_b32_e32 v5, 16, v5
	v_or_b32_e32 v12, v27, v12
	s_wait_alu 0xfffd
	v_cndmask_b32_e64 v14, 0, 1, vcc_lo
	v_cmp_ne_u32_e32 vcc_lo, v16, v24
	v_lshrrev_b32_e32 v9, 16, v9
	s_delay_alu instid0(VALU_DEP_3) | instskip(SKIP_3) | instid1(VALU_DEP_2)
	v_or_b32_e32 v14, v28, v14
	s_wait_alu 0xfffd
	v_cndmask_b32_e64 v16, 0, 1, vcc_lo
	v_cmp_gt_i32_e32 vcc_lo, 1, v11
	v_or_b32_e32 v16, v29, v16
	s_wait_alu 0xfffd
	v_cndmask_b32_e32 v10, v19, v10, vcc_lo
	v_cmp_gt_i32_e32 vcc_lo, 1, v13
	s_delay_alu instid0(VALU_DEP_2)
	v_and_b32_e32 v18, 7, v10
	s_wait_alu 0xfffd
	v_cndmask_b32_e32 v12, v21, v12, vcc_lo
	v_cmp_gt_i32_e32 vcc_lo, 1, v15
	v_lshrrev_b32_e32 v10, 2, v10
	v_cmp_eq_u32_e64 s0, 3, v18
	s_wait_alu 0xfffd
	v_cndmask_b32_e32 v14, v23, v14, vcc_lo
	v_cmp_gt_i32_e32 vcc_lo, 1, v17
	s_delay_alu instid0(VALU_DEP_2)
	v_and_b32_e32 v20, 7, v14
	s_wait_alu 0xfffd
	v_cndmask_b32_e32 v16, v25, v16, vcc_lo
	v_cmp_lt_i32_e32 vcc_lo, 5, v18
	v_lshrrev_b32_e32 v14, 2, v14
	v_cmp_lt_i32_e64 s3, 5, v20
	v_cmp_eq_u32_e64 s4, 3, v20
	s_or_b32 vcc_lo, s0, vcc_lo
	s_wait_alu 0xfffe
	v_add_co_ci_u32_e32 v10, vcc_lo, 0, v10, vcc_lo
	v_and_b32_e32 v19, 7, v12
	v_lshrrev_b32_e32 v12, 2, v12
	s_delay_alu instid0(VALU_DEP_2) | instskip(SKIP_1) | instid1(VALU_DEP_1)
	v_cmp_lt_i32_e64 s1, 5, v19
	v_cmp_eq_u32_e64 s2, 3, v19
	s_or_b32 vcc_lo, s2, s1
	s_wait_alu 0xfffe
	v_add_co_ci_u32_e32 v12, vcc_lo, 0, v12, vcc_lo
	s_or_b32 vcc_lo, s4, s3
	s_wait_alu 0xfffe
	v_add_co_ci_u32_e32 v14, vcc_lo, 0, v14, vcc_lo
	v_and_b32_e32 v21, 7, v16
	v_lshrrev_b32_e32 v16, 2, v16
	s_delay_alu instid0(VALU_DEP_2) | instskip(SKIP_1) | instid1(VALU_DEP_1)
	v_cmp_lt_i32_e64 s5, 5, v21
	v_cmp_eq_u32_e64 s6, 3, v21
	s_or_b32 vcc_lo, s6, s5
	s_wait_alu 0xfffe
	v_add_co_ci_u32_e32 v16, vcc_lo, 0, v16, vcc_lo
	v_cmp_gt_i32_e32 vcc_lo, 31, v11
	s_wait_alu 0xfffd
	v_cndmask_b32_e32 v10, 0x7c00, v10, vcc_lo
	v_cmp_gt_i32_e32 vcc_lo, 31, v13
	s_wait_alu 0xfffd
	v_cndmask_b32_e32 v12, 0x7c00, v12, vcc_lo
	;; [unrolled: 3-line block ×4, first 2 shown]
	v_cmp_eq_u32_e32 vcc_lo, 0x40f, v11
	s_wait_alu 0xfffd
	v_cndmask_b32_e32 v2, v10, v2, vcc_lo
	v_cmp_eq_u32_e32 vcc_lo, 0x40f, v15
	s_delay_alu instid0(VALU_DEP_2) | instskip(SKIP_3) | instid1(VALU_DEP_2)
	v_and_or_b32 v2, 0x8000, v3, v2
	s_wait_alu 0xfffd
	v_cndmask_b32_e32 v6, v14, v6, vcc_lo
	v_cmp_eq_u32_e32 vcc_lo, 0x40f, v13
	v_and_or_b32 v3, 0x8000, v7, v6
	s_wait_alu 0xfffd
	v_cndmask_b32_e32 v4, v12, v4, vcc_lo
	v_cmp_eq_u32_e32 vcc_lo, 0x40f, v17
	v_and_b32_e32 v6, 0xffff, v2
	v_and_b32_e32 v7, 0xffff, v3
	s_delay_alu instid0(VALU_DEP_4)
	v_and_or_b32 v4, 0x8000, v5, v4
	s_wait_alu 0xfffd
	v_cndmask_b32_e32 v8, v16, v8, vcc_lo
	v_add_co_u32 v0, vcc_lo, v0, s12
	s_wait_alu 0xfffd
	v_add_co_ci_u32_e32 v1, vcc_lo, s13, v1, vcc_lo
	s_delay_alu instid0(VALU_DEP_3) | instskip(NEXT) | instid1(VALU_DEP_3)
	v_and_or_b32 v5, 0x8000, v9, v8
	v_add_co_u32 v2, vcc_lo, v0, s8
	v_lshl_or_b32 v4, v4, 16, v6
	s_wait_alu 0xfffd
	v_add_co_ci_u32_e32 v3, vcc_lo, s9, v1, vcc_lo
	v_lshl_or_b32 v5, v5, 16, v7
	global_store_b32 v[0:1], v4, off
	global_store_b32 v[2:3], v5, off
.LBB0_23:
	s_nop 0
	s_sendmsg sendmsg(MSG_DEALLOC_VGPRS)
	s_endpgm
	.section	.rodata,"a",@progbits
	.p2align	6, 0x0
	.amdhsa_kernel bluestein_single_back_len1210_dim1_half_op_CI_CI
		.amdhsa_group_segment_fixed_size 4840
		.amdhsa_private_segment_fixed_size 0
		.amdhsa_kernarg_size 104
		.amdhsa_user_sgpr_count 2
		.amdhsa_user_sgpr_dispatch_ptr 0
		.amdhsa_user_sgpr_queue_ptr 0
		.amdhsa_user_sgpr_kernarg_segment_ptr 1
		.amdhsa_user_sgpr_dispatch_id 0
		.amdhsa_user_sgpr_private_segment_size 0
		.amdhsa_wavefront_size32 1
		.amdhsa_uses_dynamic_stack 0
		.amdhsa_enable_private_segment 0
		.amdhsa_system_sgpr_workgroup_id_x 1
		.amdhsa_system_sgpr_workgroup_id_y 0
		.amdhsa_system_sgpr_workgroup_id_z 0
		.amdhsa_system_sgpr_workgroup_info 0
		.amdhsa_system_vgpr_workitem_id 0
		.amdhsa_next_free_vgpr 214
		.amdhsa_next_free_sgpr 18
		.amdhsa_reserve_vcc 1
		.amdhsa_float_round_mode_32 0
		.amdhsa_float_round_mode_16_64 0
		.amdhsa_float_denorm_mode_32 3
		.amdhsa_float_denorm_mode_16_64 3
		.amdhsa_fp16_overflow 0
		.amdhsa_workgroup_processor_mode 1
		.amdhsa_memory_ordered 1
		.amdhsa_forward_progress 0
		.amdhsa_round_robin_scheduling 0
		.amdhsa_exception_fp_ieee_invalid_op 0
		.amdhsa_exception_fp_denorm_src 0
		.amdhsa_exception_fp_ieee_div_zero 0
		.amdhsa_exception_fp_ieee_overflow 0
		.amdhsa_exception_fp_ieee_underflow 0
		.amdhsa_exception_fp_ieee_inexact 0
		.amdhsa_exception_int_div_zero 0
	.end_amdhsa_kernel
	.text
.Lfunc_end0:
	.size	bluestein_single_back_len1210_dim1_half_op_CI_CI, .Lfunc_end0-bluestein_single_back_len1210_dim1_half_op_CI_CI
                                        ; -- End function
	.section	.AMDGPU.csdata,"",@progbits
; Kernel info:
; codeLenInByte = 26568
; NumSgprs: 20
; NumVgprs: 214
; ScratchSize: 0
; MemoryBound: 0
; FloatMode: 240
; IeeeMode: 1
; LDSByteSize: 4840 bytes/workgroup (compile time only)
; SGPRBlocks: 2
; VGPRBlocks: 26
; NumSGPRsForWavesPerEU: 20
; NumVGPRsForWavesPerEU: 214
; Occupancy: 7
; WaveLimiterHint : 1
; COMPUTE_PGM_RSRC2:SCRATCH_EN: 0
; COMPUTE_PGM_RSRC2:USER_SGPR: 2
; COMPUTE_PGM_RSRC2:TRAP_HANDLER: 0
; COMPUTE_PGM_RSRC2:TGID_X_EN: 1
; COMPUTE_PGM_RSRC2:TGID_Y_EN: 0
; COMPUTE_PGM_RSRC2:TGID_Z_EN: 0
; COMPUTE_PGM_RSRC2:TIDIG_COMP_CNT: 0
	.text
	.p2alignl 7, 3214868480
	.fill 96, 4, 3214868480
	.type	__hip_cuid_203407aa40a9b76e,@object ; @__hip_cuid_203407aa40a9b76e
	.section	.bss,"aw",@nobits
	.globl	__hip_cuid_203407aa40a9b76e
__hip_cuid_203407aa40a9b76e:
	.byte	0                               ; 0x0
	.size	__hip_cuid_203407aa40a9b76e, 1

	.ident	"AMD clang version 19.0.0git (https://github.com/RadeonOpenCompute/llvm-project roc-6.4.0 25133 c7fe45cf4b819c5991fe208aaa96edf142730f1d)"
	.section	".note.GNU-stack","",@progbits
	.addrsig
	.addrsig_sym __hip_cuid_203407aa40a9b76e
	.amdgpu_metadata
---
amdhsa.kernels:
  - .args:
      - .actual_access:  read_only
        .address_space:  global
        .offset:         0
        .size:           8
        .value_kind:     global_buffer
      - .actual_access:  read_only
        .address_space:  global
        .offset:         8
        .size:           8
        .value_kind:     global_buffer
      - .actual_access:  read_only
        .address_space:  global
        .offset:         16
        .size:           8
        .value_kind:     global_buffer
      - .actual_access:  read_only
        .address_space:  global
        .offset:         24
        .size:           8
        .value_kind:     global_buffer
      - .actual_access:  read_only
        .address_space:  global
        .offset:         32
        .size:           8
        .value_kind:     global_buffer
      - .offset:         40
        .size:           8
        .value_kind:     by_value
      - .address_space:  global
        .offset:         48
        .size:           8
        .value_kind:     global_buffer
      - .address_space:  global
        .offset:         56
        .size:           8
        .value_kind:     global_buffer
      - .address_space:  global
        .offset:         64
        .size:           8
        .value_kind:     global_buffer
      - .address_space:  global
        .offset:         72
        .size:           8
        .value_kind:     global_buffer
      - .offset:         80
        .size:           4
        .value_kind:     by_value
      - .address_space:  global
        .offset:         88
        .size:           8
        .value_kind:     global_buffer
      - .address_space:  global
        .offset:         96
        .size:           8
        .value_kind:     global_buffer
    .group_segment_fixed_size: 4840
    .kernarg_segment_align: 8
    .kernarg_segment_size: 104
    .language:       OpenCL C
    .language_version:
      - 2
      - 0
    .max_flat_workgroup_size: 110
    .name:           bluestein_single_back_len1210_dim1_half_op_CI_CI
    .private_segment_fixed_size: 0
    .sgpr_count:     20
    .sgpr_spill_count: 0
    .symbol:         bluestein_single_back_len1210_dim1_half_op_CI_CI.kd
    .uniform_work_group_size: 1
    .uses_dynamic_stack: false
    .vgpr_count:     214
    .vgpr_spill_count: 0
    .wavefront_size: 32
    .workgroup_processor_mode: 1
amdhsa.target:   amdgcn-amd-amdhsa--gfx1201
amdhsa.version:
  - 1
  - 2
...

	.end_amdgpu_metadata
